;; amdgpu-corpus repo=ROCm/aiter kind=harvested arch=n/a opt=n/a

/root/src/amdgpu-assembly/repos/ROCm__aiter/hsa/gfx942/fmha_v3_fwd/MI300/fwd_hd128_bf16_rtz_group.co:	file format elf64-amdgpu

Disassembly of section .text:

0000000000003300 <_ZN5aiter29fmha_fwd_hd128_bf16_rtz_groupE>:
	s_and_b32 s1, s1, 0xffff                                   // 000000003300: 8601FF01 0000FFFF
	s_load_dwordx2 s[20:21], s[0:1], 0x0                       // 000000003308: C0060500 00000000
	s_load_dwordx2 s[8:9], s[0:1], 0x10                        // 000000003310: C0060200 00000010
	s_load_dwordx2 s[12:13], s[0:1], 0x20                      // 000000003318: C0060300 00000020
	s_load_dwordx2 s[16:17], s[0:1], 0x30                      // 000000003320: C0060400 00000030
	s_load_dwordx2 s[24:25], s[0:1], 0x40                      // 000000003328: C0060600 00000040
	s_load_dword s28, s[0:1], 0x50                             // 000000003330: C0020700 00000050
	s_load_dword s30, s[0:1], 0x60                             // 000000003338: C0020780 00000060
	s_load_dword s62, s[0:1], 0x70                             // 000000003340: C0020F80 00000070
	s_load_dword s31, s[0:1], 0x80                             // 000000003348: C00207C0 00000080
	s_load_dword s32, s[0:1], 0x90                             // 000000003350: C0020800 00000090
	s_load_dword s33, s[0:1], 0xa0                             // 000000003358: C0020840 000000A0
	s_load_dword s46, s[0:1], 0xb0                             // 000000003360: C0020B80 000000B0
	s_load_dword s61, s[0:1], 0xc0                             // 000000003368: C0020F40 000000C0
	s_load_dword s47, s[0:1], 0xd0                             // 000000003370: C0020BC0 000000D0
	s_load_dword s48, s[0:1], 0xe0                             // 000000003378: C0020C00 000000E0
	s_load_dword s34, s[0:1], 0xf0                             // 000000003380: C0020880 000000F0
	s_load_dword s37, s[0:1], 0x100                            // 000000003388: C0020940 00000100
	s_load_dword s7, s[0:1], 0x110                             // 000000003390: C00201C0 00000110
	s_load_dword s96, s[0:1], 0x140                            // 000000003398: C0021800 00000140
	s_load_dword s80, s[0:1], 0x150                            // 0000000033A0: C0021400 00000150
	s_load_dword s81, s[0:1], 0x160                            // 0000000033A8: C0021440 00000160
	s_load_dword s82, s[0:1], 0x170                            // 0000000033B0: C0021480 00000170
	s_load_dword s83, s[0:1], 0x180                            // 0000000033B8: C00214C0 00000180
	s_load_dword s84, s[0:1], 0x190                            // 0000000033C0: C0021500 00000190
	s_load_dword s85, s[0:1], 0x1a0                            // 0000000033C8: C0021540 000001A0
	s_load_dwordx2 s[76:77], s[0:1], 0x1b0                     // 0000000033D0: C0061300 000001B0
	s_load_dwordx2 s[78:79], s[0:1], 0x1c0                     // 0000000033D8: C0061380 000001C0
	s_load_dword s86, s[0:1], 0x1d0                            // 0000000033E0: C0021580 000001D0
	s_load_dwordx2 s[88:89], s[0:1], 0x1e0                     // 0000000033E8: C0061600 000001E0
	s_load_dwordx2 s[90:91], s[0:1], 0x1f0                     // 0000000033F0: C0061680 000001F0
	v_lshrrev_b32_e32 v1, 10, v0                               // 0000000033F8: 2002008A
	v_lshrrev_b32_e32 v2, 10, v1                               // 0000000033FC: 2004028A
	v_and_b32_e32 v2, 0x3ff, v2                                // 000000003400: 260404FF 000003FF
	v_and_b32_e32 v1, 0x3ff, v1                                // 000000003408: 260202FF 000003FF
	v_and_b32_e32 v0, 0x3ff, v0                                // 000000003410: 260000FF 000003FF
	v_lshrrev_b32_e32 v3, 6, v0                                // 000000003418: 20060086
	v_and_b32_e32 v0, 63, v0                                   // 00000000341C: 260000BF
	s_mov_b32 s2, s2                                           // 000000003420: BE820002
	s_mov_b32 s3, s3                                           // 000000003424: BE830003
	s_mov_b32 s4, s4                                           // 000000003428: BE840004
	v_readfirstlane_b32 s5, v3                                 // 00000000342C: 7E0A0503
	s_waitcnt lgkmcnt(0)                                       // 000000003430: BF8CC07F
	s_and_b32 s34, s34, 1                                      // 000000003434: 86228122
	s_nop 1                                                    // 000000003438: BF800001
	s_and_b32 s77, s77, 0xffff                                 // 00000000343C: 864DFF4D 0000FFFF
	s_and_b32 s79, s79, 0xffff                                 // 000000003444: 864FFF4F 0000FFFF
	s_and_b32 s89, s89, 0xffff                                 // 00000000344C: 8659FF59 0000FFFF
	s_and_b32 s91, s91, 0xffff                                 // 000000003454: 865BFF5B 0000FFFF
	s_mul_i32 s40, s3, 4                                       // 00000000345C: 92288403
	s_load_dword s92, s[88:89], s40                            // 000000003460: C000172C 00000028
	s_load_dword s93, s[90:91], s40                            // 000000003468: C000176D 00000028
	s_load_dword s41, s[76:77], s40                            // 000000003470: C0000A66 00000028
	s_load_dword s42, s[78:79], s40                            // 000000003478: C0000AA7 00000028
	s_add_u32 s40, s40, 4                                      // 000000003480: 80288428
	s_load_dword s94, s[76:77], s40                            // 000000003484: C00017A6 00000028
	s_load_dword s95, s[78:79], s40                            // 00000000348C: C00017E7 00000028
	s_waitcnt lgkmcnt(0)                                       // 000000003494: BF8CC07F
	s_sub_u32 s30, s94, s41                                    // 000000003498: 809E295E
	s_sub_u32 s7, s95, s42                                     // 00000000349C: 80872A5F
	s_add_i32 s40, s30, 0xff                                   // 0000000034A0: 8128FF1E 000000FF
	s_lshr_b32 s40, s40, 8                                     // 0000000034A8: 8F288828
	s_cmp_lt_i32 s4, s40                                       // 0000000034AC: BF042804
	s_cbranch_scc0 label_0CE0                                  // 0000000034B0: BF840C73
	s_mul_i32 s40, s30, s62                                    // 0000000034B4: 92283E1E
	s_mov_b32 s10, s40                                         // 0000000034B8: BE8A0028
	s_mul_i32 s40, s30, s83                                    // 0000000034BC: 9228531E
	s_mov_b32 s22, s40                                         // 0000000034C0: BE960028
	s_mul_i32 s40, s7, s61                                     // 0000000034C4: 92283D07
	s_mov_b32 s14, s40                                         // 0000000034C8: BE8E0028
	s_mul_i32 s40, s7, s80                                     // 0000000034CC: 92285007
	s_mov_b32 s18, s40                                         // 0000000034D0: BE920028
	s_mul_i32 s40, s30, 4                                      // 0000000034D4: 9228841E
	s_mov_b32 s26, s40                                         // 0000000034D8: BE9A0028
	s_mov_b32 s23, 0x20000                                     // 0000000034DC: BE9700FF 00020000
	s_mov_b32 s11, 0x20000                                     // 0000000034E4: BE8B00FF 00020000
	s_mov_b32 s15, 0x20000                                     // 0000000034EC: BE8F00FF 00020000
	s_mov_b32 s19, 0x20000                                     // 0000000034F4: BE9300FF 00020000
	s_mov_b32 s27, 0x20000                                     // 0000000034FC: BE9B00FF 00020000
	s_and_b32 s21, s21, 0xffff                                 // 000000003504: 8615FF15 0000FFFF
	s_and_b32 s9, s9, 0xffff                                   // 00000000350C: 8609FF09 0000FFFF
	s_and_b32 s13, s13, 0xffff                                 // 000000003514: 860DFF0D 0000FFFF
	s_and_b32 s17, s17, 0xffff                                 // 00000000351C: 8611FF11 0000FFFF
	s_and_b32 s25, s25, 0xffff                                 // 000000003524: 8619FF19 0000FFFF
	s_nop 0                                                    // 00000000352C: BF800000
	s_nop 0                                                    // 000000003530: BF800000
	s_mov_b32 s64, s2                                          // 000000003534: BEC00002
	s_mov_b32 s65, s46                                         // 000000003538: BEC1002E
	v_cvt_f32_u32_e32 v16, s65                                 // 00000000353C: 7E200C41
	s_sub_i32 s40, 0, s65                                      // 000000003540: 81A84180
	v_rcp_iflag_f32_e32 v16, v16                               // 000000003544: 7E204710
	s_nop 0                                                    // 000000003548: BF800000
	v_mul_f32_e32 v16, 0x4f7ffffe, v16                         // 00000000354C: 0A2020FF 4F7FFFFE
	v_cvt_u32_f32_e32 v16, v16                                 // 000000003554: 7E200F10
	v_mul_lo_u32 v17, s40, v16                                 // 000000003558: D2850011 00022028
	v_mul_hi_u32 v17, v16, v17                                 // 000000003560: D2860011 00022310
	v_add_u32_e32 v16, v16, v17                                // 000000003568: 68202310
	v_mul_hi_u32 v16, s64, v16                                 // 00000000356C: D2860010 00022040
	v_mul_lo_u32 v17, v16, s65                                 // 000000003574: D2850011 00008310
	v_sub_u32_e32 v19, s64, v17                                // 00000000357C: 6A262240
	v_add_u32_e32 v18, 1, v16                                  // 000000003580: 68242081
	v_cmp_le_u32_e32 vcc, s65, v19                             // 000000003584: 7D962641
	v_subrev_u32_e32 v17, s65, v19                             // 000000003588: 6C222641
	s_nop 0                                                    // 00000000358C: BF800000
	v_cndmask_b32_e32 v16, v16, v18, vcc                       // 000000003590: 00202510
	v_cndmask_b32_e32 v19, v19, v17, vcc                       // 000000003594: 00262313
	v_add_u32_e32 v17, 1, v16                                  // 000000003598: 68222081
	v_cmp_le_u32_e32 vcc, s65, v19                             // 00000000359C: 7D962641
	s_nop 1                                                    // 0000000035A0: BF800001
	v_cndmask_b32_e32 v19, v16, v17, vcc                       // 0000000035A4: 00262310
	s_nop 3                                                    // 0000000035A8: BF800003
	v_readfirstlane_b32 s66, v19                               // 0000000035AC: 7E840513
	s_nop 3                                                    // 0000000035B0: BF800003
	s_mov_b32 s49, 0x7060302                                   // 0000000035B4: BEB100FF 07060302
	s_mov_b32 s50, 0x5040100                                   // 0000000035BC: BEB200FF 05040100
	v_mov_b32_e32 v41, 0xffff0000                              // 0000000035C4: 7E5202FF FFFF0000
	v_mov_b32_e32 v42, 0x7fff0000                              // 0000000035CC: 7E5402FF 7FFF0000
	v_mov_b32_e32 v43, 0x7fff                                  // 0000000035D4: 7E5602FF 00007FFF
	v_lshrrev_b32_e32 v16, 5, v0                               // 0000000035DC: 20200085
	v_sub_u32_e32 v16, 1, v16                                  // 0000000035E0: 6A202081
	v_mul_i32_i24_e32 v32, 0x80, v16                           // 0000000035E4: 0C4020FF 00000080
	v_and_b32_e32 v16, 31, v0                                  // 0000000035EC: 2620009F
	v_mul_i32_i24_e32 v16, 4, v16                              // 0000000035F0: 0C202084
	v_add_u32_e32 v32, v16, v32                                // 0000000035F4: 68404110
	s_mov_b32 s60, 0                                           // 0000000035F8: BEBC0080
	s_mov_b32 s35, 0                                           // 0000000035FC: BEA30080
	s_mul_i32 s43, 32, s61                                     // 000000003600: 922B3DA0
	s_mul_i32 s44, 32, s80                                     // 000000003604: 922C50A0
	s_mul_i32 s40, s92, s62                                    // 000000003608: 92283E5C
	s_mul_hi_u32 s42, s92, s62                                 // 00000000360C: 962A3E5C
	s_and_b32 s42, s42, 0xffff                                 // 000000003610: 862AFF2A 0000FFFF
	s_mul_i32 s41, s2, s32                                     // 000000003618: 92292002
	s_add_u32 s40, s40, s41                                    // 00000000361C: 80282928
	s_add_u32 s8, s40, s8                                      // 000000003620: 80080828
	s_addc_u32 s9, s42, s9                                     // 000000003624: 8209092A
	s_mul_i32 s40, s92, s83                                    // 000000003628: 9228535C
	s_mul_hi_u32 s42, s92, s83                                 // 00000000362C: 962A535C
	s_and_b32 s42, s42, 0xffff                                 // 000000003630: 862AFF2A 0000FFFF
	s_mul_i32 s41, s2, s84                                     // 000000003638: 92295402
	s_add_u32 s40, s40, s41                                    // 00000000363C: 80282928
	s_add_u32 s20, s40, s20                                    // 000000003640: 80141428
	s_addc_u32 s21, s42, s21                                   // 000000003644: 8215152A
	s_mul_i32 s40, s2, s86                                     // 000000003648: 92285602
	s_mul_i32 s41, s92, 4                                      // 00000000364C: 9229845C
	s_add_i32 s40, s40, s41                                    // 000000003650: 81282928
	s_add_u32 s24, s40, s24                                    // 000000003654: 80181828
	s_addc_u32 s25, 0, s25                                     // 000000003658: 82191980
	s_mul_i32 s40, s93, s61                                    // 00000000365C: 92283D5D
	s_mul_hi_u32 s42, s93, s61                                 // 000000003660: 962A3D5D
	s_and_b32 s42, s42, 0xffff                                 // 000000003664: 862AFF2A 0000FFFF
	s_mul_i32 s41, s66, s47                                    // 00000000366C: 92292F42
	s_add_u32 s40, s40, s41                                    // 000000003670: 80282928
	s_add_u32 s12, s40, s12                                    // 000000003674: 800C0C28
	s_addc_u32 s13, s42, s13                                   // 000000003678: 820D0D2A
	s_mul_i32 s40, s93, s80                                    // 00000000367C: 9228505D
	s_mul_hi_u32 s42, s93, s80                                 // 000000003680: 962A505D
	s_and_b32 s42, s42, 0xffff                                 // 000000003684: 862AFF2A 0000FFFF
	s_mul_i32 s41, s66, s81                                    // 00000000368C: 92295142
	s_add_u32 s40, s40, s41                                    // 000000003690: 80282928
	s_add_u32 s16, s40, s16                                    // 000000003694: 80101028
	s_addc_u32 s17, s42, s17                                   // 000000003698: 8211112A
	s_mov_b32 s52, 0                                           // 00000000369C: BEB40080
	s_mov_b32 s53, 32                                          // 0000000036A0: BEB500A0
	s_mov_b32 s36, 0                                           // 0000000036A4: BEA40080
	s_mov_b32 s29, 0x3fb8aa3b                                  // 0000000036A8: BE9D00FF 3FB8AA3B
	v_mov_b32_e32 v31, 0xff800000                              // 0000000036B0: 7E3E02FF FF800000
	s_mov_b32 s59, 0                                           // 0000000036B8: BEBB0080
	s_lshr_b32 s54, s7, 5                                      // 0000000036BC: 8F368507
	s_lshl_b32 s54, s54, 5                                     // 0000000036C0: 8E368536
	v_lshrrev_b32_e32 v16, 5, v0                               // 0000000036C4: 20200085
	v_mul_i32_i24_e32 v30, 4, v16                              // 0000000036C8: 0C3C2084
	s_mov_b32 s38, s7                                          // 0000000036CC: BEA60007
	s_mov_b32 s39, 0                                           // 0000000036D0: BEA70080
	v_mov_b32_e32 v17, s29                                     // 0000000036D4: 7E22021D
	v_mov_b32_e32 v16, s28                                     // 0000000036D8: 7E20021C
	v_mul_f32_e32 v16, s29, v16                                // 0000000036DC: 0A20201D
	v_rcp_f32_e32 v17, v17                                     // 0000000036E0: 7E224511
	v_mov_b32_e32 v22, 0                                       // 0000000036E4: 7E2C0280
	v_mov_b32_e32 v28, 0xff7fffff                              // 0000000036E8: 7E3802FF FF7FFFFF
	v_mov_b32_e32 v20, 0                                       // 0000000036F0: 7E280280
	v_mov_b32_e32 v22, 0                                       // 0000000036F4: 7E2C0280
	v_readfirstlane_b32 s56, v16                               // 0000000036F8: 7E700510
	v_readfirstlane_b32 s45, v17                               // 0000000036FC: 7E5A0511
	v_rcp_f32_e32 v16, v16                                     // 000000003700: 7E204510
	s_nop 1                                                    // 000000003704: BF800001
	v_mul_f32_e32 v16, v28, v16                                // 000000003708: 0A20211C
	v_max_f32_e32 v28, v28, v16                                // 00000000370C: 1638211C
	s_mul_i32 s63, s4, s31                                     // 000000003710: 923F1F04
	v_lshlrev_b32_e32 v8, 2, v0                                // 000000003714: 24100082
	s_mul_i32 s40, s5, s62                                     // 000000003718: 92283E05
	v_add_u32_e32 v8, s40, v8                                  // 00000000371C: 68101028
	s_mul_i32 s41, 8, s62                                      // 000000003720: 92293E88
	v_add_u32_e32 v9, s41, v8                                  // 000000003724: 68121029
	v_add_u32_e32 v10, s41, v9                                 // 000000003728: 68141229
	v_add_u32_e32 v11, s41, v10                                // 00000000372C: 68161429
	v_add_u32_e32 v8, s63, v8                                  // 000000003730: 6810103F
	v_add_u32_e32 v9, s63, v9                                  // 000000003734: 6812123F
	v_add_u32_e32 v10, s63, v10                                // 000000003738: 6814143F
	v_add_u32_e32 v11, s63, v11                                // 00000000373C: 6816163F
	s_mul_i32 s40, s5, 0x110                                   // 000000003740: 9228FF05 00000110
	s_add_u32 s58, 0x4400, s40                                 // 000000003748: 803A28FF 00004400
	s_mov_b32 s57, s56                                         // 000000003750: BEB90038
	s_mov_b32 s40, 0                                           // 000000003754: BEA80080
	s_add_u32 m0, s40, s58                                     // 000000003758: 807C3A28
	s_mul_i32 s40, 0, s62                                      // 00000000375C: 92283E80
	v_add_u32_e32 v4, s40, v8                                  // 000000003760: 68081028
	v_add_u32_e32 v5, s40, v9                                  // 000000003764: 680A1228
	v_add_u32_e32 v6, s40, v10                                 // 000000003768: 680C1428
	v_add_u32_e32 v7, s40, v11                                 // 00000000376C: 680E1628
	buffer_load_dword v4, s[8:11], s59 offen lds               // 000000003770: E0511000 3B020004
	s_add_u32 m0, 0x880, m0                                    // 000000003778: 807C7CFF 00000880
	buffer_load_dword v5, s[8:11], s59 offen lds               // 000000003780: E0511000 3B020005
	s_add_u32 m0, 0x880, m0                                    // 000000003788: 807C7CFF 00000880
	buffer_load_dword v6, s[8:11], s59 offen lds               // 000000003790: E0511000 3B020006
	s_add_u32 m0, 0x880, m0                                    // 000000003798: 807C7CFF 00000880
	buffer_load_dword v7, s[8:11], s59 offen lds               // 0000000037A0: E0511000 3B020007
	s_add_u32 m0, 0x880, m0                                    // 0000000037A8: 807C7CFF 00000880
	s_mov_b32 s40, 0x2200                                      // 0000000037B0: BEA800FF 00002200
	s_add_u32 m0, s40, s58                                     // 0000000037B8: 807C3A28
	s_mul_i32 s40, 32, s62                                     // 0000000037BC: 92283EA0
	v_add_u32_e32 v4, s40, v8                                  // 0000000037C0: 68081028
	v_add_u32_e32 v5, s40, v9                                  // 0000000037C4: 680A1228
	v_add_u32_e32 v6, s40, v10                                 // 0000000037C8: 680C1428
	v_add_u32_e32 v7, s40, v11                                 // 0000000037CC: 680E1628
	buffer_load_dword v4, s[8:11], s59 offen lds               // 0000000037D0: E0511000 3B020004
	s_add_u32 m0, 0x880, m0                                    // 0000000037D8: 807C7CFF 00000880
	buffer_load_dword v5, s[8:11], s59 offen lds               // 0000000037E0: E0511000 3B020005
	s_add_u32 m0, 0x880, m0                                    // 0000000037E8: 807C7CFF 00000880
	buffer_load_dword v6, s[8:11], s59 offen lds               // 0000000037F0: E0511000 3B020006
	s_add_u32 m0, 0x880, m0                                    // 0000000037F8: 807C7CFF 00000880
	buffer_load_dword v7, s[8:11], s59 offen lds               // 000000003800: E0511000 3B020007
	s_add_u32 m0, 0x880, m0                                    // 000000003808: 807C7CFF 00000880
	s_mov_b32 s40, 0x4400                                      // 000000003810: BEA800FF 00004400
	s_add_u32 m0, s40, s58                                     // 000000003818: 807C3A28
	s_mul_i32 s40, 64, s62                                     // 00000000381C: 92283EC0
	v_add_u32_e32 v4, s40, v8                                  // 000000003820: 68081028
	v_add_u32_e32 v5, s40, v9                                  // 000000003824: 680A1228
	v_add_u32_e32 v6, s40, v10                                 // 000000003828: 680C1428
	v_add_u32_e32 v7, s40, v11                                 // 00000000382C: 680E1628
	buffer_load_dword v4, s[8:11], s59 offen lds               // 000000003830: E0511000 3B020004
	s_add_u32 m0, 0x880, m0                                    // 000000003838: 807C7CFF 00000880
	buffer_load_dword v5, s[8:11], s59 offen lds               // 000000003840: E0511000 3B020005
	s_add_u32 m0, 0x880, m0                                    // 000000003848: 807C7CFF 00000880
	buffer_load_dword v6, s[8:11], s59 offen lds               // 000000003850: E0511000 3B020006
	s_add_u32 m0, 0x880, m0                                    // 000000003858: 807C7CFF 00000880
	buffer_load_dword v7, s[8:11], s59 offen lds               // 000000003860: E0511000 3B020007
	s_add_u32 m0, 0x880, m0                                    // 000000003868: 807C7CFF 00000880
	s_mov_b32 s40, 0x6600                                      // 000000003870: BEA800FF 00006600
	s_add_u32 m0, s40, s58                                     // 000000003878: 807C3A28
	s_mul_i32 s40, 0x60, s62                                   // 00000000387C: 92283EFF 00000060
	v_add_u32_e32 v4, s40, v8                                  // 000000003884: 68081028
	v_add_u32_e32 v5, s40, v9                                  // 000000003888: 680A1228
	v_add_u32_e32 v6, s40, v10                                 // 00000000388C: 680C1428
	v_add_u32_e32 v7, s40, v11                                 // 000000003890: 680E1628
	buffer_load_dword v4, s[8:11], s59 offen lds               // 000000003894: E0511000 3B020004
	s_add_u32 m0, 0x880, m0                                    // 00000000389C: 807C7CFF 00000880
	buffer_load_dword v5, s[8:11], s59 offen lds               // 0000000038A4: E0511000 3B020005
	s_add_u32 m0, 0x880, m0                                    // 0000000038AC: 807C7CFF 00000880
	buffer_load_dword v6, s[8:11], s59 offen lds               // 0000000038B4: E0511000 3B020006
	s_add_u32 m0, 0x880, m0                                    // 0000000038BC: 807C7CFF 00000880
	buffer_load_dword v7, s[8:11], s59 offen lds               // 0000000038C4: E0511000 3B020007
	s_add_u32 m0, 0x880, m0                                    // 0000000038CC: 807C7CFF 00000880
	v_mov_b32_e32 v96, 0                                       // 0000000038D4: 7EC00280
	v_mov_b32_e32 v97, 0                                       // 0000000038D8: 7EC20280
	v_mov_b32_e32 v98, 0                                       // 0000000038DC: 7EC40280
	v_mov_b32_e32 v99, 0                                       // 0000000038E0: 7EC60280
	v_mov_b32_e32 v100, 0                                      // 0000000038E4: 7EC80280
	v_mov_b32_e32 v101, 0                                      // 0000000038E8: 7ECA0280
	v_mov_b32_e32 v102, 0                                      // 0000000038EC: 7ECC0280
	v_mov_b32_e32 v103, 0                                      // 0000000038F0: 7ECE0280
	v_mov_b32_e32 v104, 0                                      // 0000000038F4: 7ED00280
	v_mov_b32_e32 v105, 0                                      // 0000000038F8: 7ED20280
	v_mov_b32_e32 v106, 0                                      // 0000000038FC: 7ED40280
	v_mov_b32_e32 v107, 0                                      // 000000003900: 7ED60280
	v_mov_b32_e32 v108, 0                                      // 000000003904: 7ED80280
	v_mov_b32_e32 v109, 0                                      // 000000003908: 7EDA0280
	v_mov_b32_e32 v110, 0                                      // 00000000390C: 7EDC0280
	v_mov_b32_e32 v111, 0                                      // 000000003910: 7EDE0280
	v_mov_b32_e32 v112, 0                                      // 000000003914: 7EE00280
	v_mov_b32_e32 v113, 0                                      // 000000003918: 7EE20280
	v_mov_b32_e32 v114, 0                                      // 00000000391C: 7EE40280
	v_mov_b32_e32 v115, 0                                      // 000000003920: 7EE60280
	v_mov_b32_e32 v116, 0                                      // 000000003924: 7EE80280
	v_mov_b32_e32 v117, 0                                      // 000000003928: 7EEA0280
	v_mov_b32_e32 v118, 0                                      // 00000000392C: 7EEC0280
	v_mov_b32_e32 v119, 0                                      // 000000003930: 7EEE0280
	v_mov_b32_e32 v120, 0                                      // 000000003934: 7EF00280
	v_mov_b32_e32 v121, 0                                      // 000000003938: 7EF20280
	v_mov_b32_e32 v122, 0                                      // 00000000393C: 7EF40280
	v_mov_b32_e32 v123, 0                                      // 000000003940: 7EF60280
	v_mov_b32_e32 v124, 0                                      // 000000003944: 7EF80280
	v_mov_b32_e32 v125, 0                                      // 000000003948: 7EFA0280
	v_mov_b32_e32 v126, 0                                      // 00000000394C: 7EFC0280
	v_mov_b32_e32 v127, 0                                      // 000000003950: 7EFE0280
	v_lshrrev_b32_e32 v16, 5, v0                               // 000000003954: 20200085
	v_mul_i32_i24_e32 v17, 4, v16                              // 000000003958: 0C222084
	v_and_b32_e32 v16, 31, v0                                  // 00000000395C: 2620009F
	v_mul_i32_i24_e32 v2, 0x44, v16                            // 000000003960: 0C0420FF 00000044
	v_add_u32_e32 v2, v2, v17                                  // 000000003968: 68042302
	v_lshlrev_b32_e32 v2, 2, v2                                // 00000000396C: 24040482
	s_and_b32 s40, 3, s5                                       // 000000003970: 86280583
	s_mul_i32 s40, s40, 0x2200                                 // 000000003974: 9228FF28 00002200
	v_add_u32_e32 v2, s40, v2                                  // 00000000397C: 68040428
	s_waitcnt vmcnt(0) expcnt(0) lgkmcnt(0)                    // 000000003980: BF8C0000
	s_barrier                                                  // 000000003984: BF8A0000
	s_cmp_lt_i32 s5, 4                                         // 000000003988: BF048405
	s_cbranch_scc0 label_01B4                                  // 00000000398C: BF840010
	ds_read_b128 v[160:163], v2 offset:17408                   // 000000003990: D9FE4400 A0000002
	ds_read_b128 v[164:167], v2 offset:17440                   // 000000003998: D9FE4420 A4000002
	ds_read_b128 v[168:171], v2 offset:17472                   // 0000000039A0: D9FE4440 A8000002
	ds_read_b128 v[172:175], v2 offset:17504                   // 0000000039A8: D9FE4460 AC000002
	ds_read_b128 v[176:179], v2 offset:17536                   // 0000000039B0: D9FE4480 B0000002
	ds_read_b128 v[180:183], v2 offset:17568                   // 0000000039B8: D9FE44A0 B4000002
	ds_read_b128 v[184:187], v2 offset:17600                   // 0000000039C0: D9FE44C0 B8000002
	ds_read_b128 v[188:191], v2 offset:17632                   // 0000000039C8: D9FE44E0 BC000002

00000000000039d0 <label_01B4>:
	s_waitcnt vmcnt(0) expcnt(0) lgkmcnt(0)                    // 0000000039D0: BF8C0000
	s_barrier                                                  // 0000000039D4: BF8A0000
	s_mov_b32 s40, 0                                           // 0000000039D8: BEA80080
	s_add_u32 m0, s40, s58                                     // 0000000039DC: 807C3A28
	s_mul_i32 s40, 0x80, s62                                   // 0000000039E0: 92283EFF 00000080
	v_add_u32_e32 v4, s40, v8                                  // 0000000039E8: 68081028
	v_add_u32_e32 v5, s40, v9                                  // 0000000039EC: 680A1228
	v_add_u32_e32 v6, s40, v10                                 // 0000000039F0: 680C1428
	v_add_u32_e32 v7, s40, v11                                 // 0000000039F4: 680E1628
	buffer_load_dword v4, s[8:11], s59 offen lds               // 0000000039F8: E0511000 3B020004
	s_add_u32 m0, 0x880, m0                                    // 000000003A00: 807C7CFF 00000880
	buffer_load_dword v5, s[8:11], s59 offen lds               // 000000003A08: E0511000 3B020005
	s_add_u32 m0, 0x880, m0                                    // 000000003A10: 807C7CFF 00000880
	buffer_load_dword v6, s[8:11], s59 offen lds               // 000000003A18: E0511000 3B020006
	s_add_u32 m0, 0x880, m0                                    // 000000003A20: 807C7CFF 00000880
	buffer_load_dword v7, s[8:11], s59 offen lds               // 000000003A28: E0511000 3B020007
	s_add_u32 m0, 0x880, m0                                    // 000000003A30: 807C7CFF 00000880
	s_mov_b32 s40, 0x2200                                      // 000000003A38: BEA800FF 00002200
	s_add_u32 m0, s40, s58                                     // 000000003A40: 807C3A28
	s_mul_i32 s40, 0xa0, s62                                   // 000000003A44: 92283EFF 000000A0
	v_add_u32_e32 v4, s40, v8                                  // 000000003A4C: 68081028
	v_add_u32_e32 v5, s40, v9                                  // 000000003A50: 680A1228
	v_add_u32_e32 v6, s40, v10                                 // 000000003A54: 680C1428
	v_add_u32_e32 v7, s40, v11                                 // 000000003A58: 680E1628
	buffer_load_dword v4, s[8:11], s59 offen lds               // 000000003A5C: E0511000 3B020004
	s_add_u32 m0, 0x880, m0                                    // 000000003A64: 807C7CFF 00000880
	buffer_load_dword v5, s[8:11], s59 offen lds               // 000000003A6C: E0511000 3B020005
	s_add_u32 m0, 0x880, m0                                    // 000000003A74: 807C7CFF 00000880
	buffer_load_dword v6, s[8:11], s59 offen lds               // 000000003A7C: E0511000 3B020006
	s_add_u32 m0, 0x880, m0                                    // 000000003A84: 807C7CFF 00000880
	buffer_load_dword v7, s[8:11], s59 offen lds               // 000000003A8C: E0511000 3B020007
	s_add_u32 m0, 0x880, m0                                    // 000000003A94: 807C7CFF 00000880
	s_mov_b32 s40, 0x4400                                      // 000000003A9C: BEA800FF 00004400
	s_add_u32 m0, s40, s58                                     // 000000003AA4: 807C3A28
	s_mul_i32 s40, 0xc0, s62                                   // 000000003AA8: 92283EFF 000000C0
	v_add_u32_e32 v4, s40, v8                                  // 000000003AB0: 68081028
	v_add_u32_e32 v5, s40, v9                                  // 000000003AB4: 680A1228
	v_add_u32_e32 v6, s40, v10                                 // 000000003AB8: 680C1428
	v_add_u32_e32 v7, s40, v11                                 // 000000003ABC: 680E1628
	buffer_load_dword v4, s[8:11], s59 offen lds               // 000000003AC0: E0511000 3B020004
	s_add_u32 m0, 0x880, m0                                    // 000000003AC8: 807C7CFF 00000880
	buffer_load_dword v5, s[8:11], s59 offen lds               // 000000003AD0: E0511000 3B020005
	s_add_u32 m0, 0x880, m0                                    // 000000003AD8: 807C7CFF 00000880
	buffer_load_dword v6, s[8:11], s59 offen lds               // 000000003AE0: E0511000 3B020006
	s_add_u32 m0, 0x880, m0                                    // 000000003AE8: 807C7CFF 00000880
	buffer_load_dword v7, s[8:11], s59 offen lds               // 000000003AF0: E0511000 3B020007
	s_add_u32 m0, 0x880, m0                                    // 000000003AF8: 807C7CFF 00000880
	s_mov_b32 s40, 0x6600                                      // 000000003B00: BEA800FF 00006600
	s_add_u32 m0, s40, s58                                     // 000000003B08: 807C3A28
	s_mul_i32 s40, 0xe0, s62                                   // 000000003B0C: 92283EFF 000000E0
	v_add_u32_e32 v4, s40, v8                                  // 000000003B14: 68081028
	v_add_u32_e32 v5, s40, v9                                  // 000000003B18: 680A1228
	v_add_u32_e32 v6, s40, v10                                 // 000000003B1C: 680C1428
	v_add_u32_e32 v7, s40, v11                                 // 000000003B20: 680E1628
	buffer_load_dword v4, s[8:11], s59 offen lds               // 000000003B24: E0511000 3B020004
	s_add_u32 m0, 0x880, m0                                    // 000000003B2C: 807C7CFF 00000880
	buffer_load_dword v5, s[8:11], s59 offen lds               // 000000003B34: E0511000 3B020005
	s_add_u32 m0, 0x880, m0                                    // 000000003B3C: 807C7CFF 00000880
	buffer_load_dword v6, s[8:11], s59 offen lds               // 000000003B44: E0511000 3B020006
	s_add_u32 m0, 0x880, m0                                    // 000000003B4C: 807C7CFF 00000880
	buffer_load_dword v7, s[8:11], s59 offen lds               // 000000003B54: E0511000 3B020007
	s_add_u32 m0, 0x880, m0                                    // 000000003B5C: 807C7CFF 00000880
	v_mov_b32_e32 v128, 0                                      // 000000003B64: 7F000280
	v_mov_b32_e32 v129, 0                                      // 000000003B68: 7F020280
	v_mov_b32_e32 v130, 0                                      // 000000003B6C: 7F040280
	v_mov_b32_e32 v131, 0                                      // 000000003B70: 7F060280
	v_mov_b32_e32 v132, 0                                      // 000000003B74: 7F080280
	v_mov_b32_e32 v133, 0                                      // 000000003B78: 7F0A0280
	v_mov_b32_e32 v134, 0                                      // 000000003B7C: 7F0C0280
	v_mov_b32_e32 v135, 0                                      // 000000003B80: 7F0E0280
	v_mov_b32_e32 v136, 0                                      // 000000003B84: 7F100280
	v_mov_b32_e32 v137, 0                                      // 000000003B88: 7F120280
	v_mov_b32_e32 v138, 0                                      // 000000003B8C: 7F140280
	v_mov_b32_e32 v139, 0                                      // 000000003B90: 7F160280
	v_mov_b32_e32 v140, 0                                      // 000000003B94: 7F180280
	v_mov_b32_e32 v141, 0                                      // 000000003B98: 7F1A0280
	v_mov_b32_e32 v142, 0                                      // 000000003B9C: 7F1C0280
	v_mov_b32_e32 v143, 0                                      // 000000003BA0: 7F1E0280
	v_mov_b32_e32 v144, 0                                      // 000000003BA4: 7F200280
	v_mov_b32_e32 v145, 0                                      // 000000003BA8: 7F220280
	v_mov_b32_e32 v146, 0                                      // 000000003BAC: 7F240280
	v_mov_b32_e32 v147, 0                                      // 000000003BB0: 7F260280
	v_mov_b32_e32 v148, 0                                      // 000000003BB4: 7F280280
	v_mov_b32_e32 v149, 0                                      // 000000003BB8: 7F2A0280
	v_mov_b32_e32 v150, 0                                      // 000000003BBC: 7F2C0280
	v_mov_b32_e32 v151, 0                                      // 000000003BC0: 7F2E0280
	v_mov_b32_e32 v152, 0                                      // 000000003BC4: 7F300280
	v_mov_b32_e32 v153, 0                                      // 000000003BC8: 7F320280
	v_mov_b32_e32 v154, 0                                      // 000000003BCC: 7F340280
	v_mov_b32_e32 v155, 0                                      // 000000003BD0: 7F360280
	v_mov_b32_e32 v156, 0                                      // 000000003BD4: 7F380280
	v_mov_b32_e32 v157, 0                                      // 000000003BD8: 7F3A0280
	v_mov_b32_e32 v158, 0                                      // 000000003BDC: 7F3C0280
	v_mov_b32_e32 v159, 0                                      // 000000003BE0: 7F3E0280
	s_cmp_le_u32 s7, 0                                         // 000000003BE4: BF0B8007
	s_cbranch_scc1 label_0BAA                                  // 000000003BE8: BF85096F
	v_lshrrev_b32_e32 v16, 5, v0                               // 000000003BEC: 20200085
	v_mul_i32_i24_e32 v17, 4, v16                              // 000000003BF0: 0C222084
	v_and_b32_e32 v16, 31, v0                                  // 000000003BF4: 2620009F
	v_mul_i32_i24_e32 v12, 0x44, v16                           // 000000003BF8: 0C1820FF 00000044
	v_add_u32_e32 v12, v12, v17                                // 000000003C00: 6818230C
	v_lshlrev_b32_e32 v12, 2, v12                              // 000000003C04: 24181882
	v_lshrrev_b32_e32 v16, 5, v0                               // 000000003C08: 20200085
	v_mul_i32_i24_e32 v17, 0x80, v16                           // 000000003C0C: 0C2220FF 00000080
	v_and_b32_e32 v16, 30, v0                                  // 000000003C14: 2620009E
	v_add_u32_e32 v13, v17, v16                                // 000000003C18: 681A2111
	v_and_b32_e32 v16, 1, v0                                   // 000000003C1C: 26200081
	v_mul_i32_i24_e32 v16, 0x410, v16                          // 000000003C20: 0C2020FF 00000410
	v_add_u32_e32 v13, v16, v13                                // 000000003C28: 681A1B10
	v_lshlrev_b32_e32 v13, 2, v13                              // 000000003C2C: 241A1A82
	v_lshlrev_b32_e32 v14, 1, v0                               // 000000003C30: 241C0081
	s_mul_i32 s40, s5, 0x80                                    // 000000003C34: 9228FF05 00000080
	v_add_u32_e32 v14, s40, v14                                // 000000003C3C: 681C1C28
	v_lshlrev_b32_e32 v14, 2, v14                              // 000000003C40: 241C1C82
	v_lshlrev_b32_e32 v4, 2, v0                                // 000000003C44: 24080082
	s_mul_i32 s40, s5, s61                                     // 000000003C48: 92283D05
	v_add_u32_e32 v4, s40, v4                                  // 000000003C4C: 68080828
	s_mul_i32 s41, 8, s61                                      // 000000003C50: 92293D88
	v_add_u32_e32 v5, s41, v4                                  // 000000003C54: 680A0829
	v_add_u32_e32 v6, s41, v5                                  // 000000003C58: 680C0A29
	v_add_u32_e32 v7, s41, v6                                  // 000000003C5C: 680E0C29
	s_mul_i32 s40, s5, 0x110                                   // 000000003C60: 9228FF05 00000110
	s_add_u32 s68, 0, s40                                      // 000000003C68: 80442880
	s_add_u32 s69, 0x2200, s68                                 // 000000003C6C: 804544FF 00002200
	v_lshlrev_b32_e32 v8, 2, v0                                // 000000003C74: 24100082
	s_mul_i32 s40, s5, s80                                     // 000000003C78: 92285005
	s_mul_i32 s40, s40, 4                                      // 000000003C7C: 92288428
	v_add_u32_e32 v8, s40, v8                                  // 000000003C80: 68101028
	v_add_u32_e32 v9, s80, v8                                  // 000000003C84: 68121050
	v_add_u32_e32 v10, s80, v9                                 // 000000003C88: 68141250
	v_add_u32_e32 v11, s80, v10                                // 000000003C8C: 68161450
	s_waitcnt vmcnt(0) expcnt(0) lgkmcnt(0)                    // 000000003C90: BF8C0000
	s_barrier                                                  // 000000003C94: BF8A0000
	s_cmp_lt_i32 s5, 4                                         // 000000003C98: BF048405
	s_cbranch_scc1 label_0278                                  // 000000003C9C: BF850010
	ds_read_b128 v[160:163], v2 offset:17408                   // 000000003CA0: D9FE4400 A0000002
	ds_read_b128 v[164:167], v2 offset:17440                   // 000000003CA8: D9FE4420 A4000002
	ds_read_b128 v[168:171], v2 offset:17472                   // 000000003CB0: D9FE4440 A8000002
	ds_read_b128 v[172:175], v2 offset:17504                   // 000000003CB8: D9FE4460 AC000002
	ds_read_b128 v[176:179], v2 offset:17536                   // 000000003CC0: D9FE4480 B0000002
	ds_read_b128 v[180:183], v2 offset:17568                   // 000000003CC8: D9FE44A0 B4000002
	ds_read_b128 v[184:187], v2 offset:17600                   // 000000003CD0: D9FE44C0 B8000002
	ds_read_b128 v[188:191], v2 offset:17632                   // 000000003CD8: D9FE44E0 BC000002

0000000000003ce0 <label_0278>:
	s_waitcnt vmcnt(0) expcnt(0) lgkmcnt(0)                    // 000000003CE0: BF8C0000
	s_barrier                                                  // 000000003CE4: BF8A0000
	s_mov_b32 m0, s68                                          // 000000003CE8: BEFC0044
	buffer_load_dword v4, s[12:15], s60 offen lds              // 000000003CEC: E0511000 3C030004
	s_add_u32 m0, 0x880, m0                                    // 000000003CF4: 807C7CFF 00000880
	buffer_load_dword v5, s[12:15], s60 offen lds              // 000000003CFC: E0511000 3C030005
	s_add_u32 m0, 0x880, m0                                    // 000000003D04: 807C7CFF 00000880
	buffer_load_dword v6, s[12:15], s60 offen lds              // 000000003D0C: E0511000 3C030006
	s_add_u32 m0, 0x880, m0                                    // 000000003D14: 807C7CFF 00000880
	buffer_load_dword v7, s[12:15], s60 offen lds              // 000000003D1C: E0511000 3C030007
	s_add_u32 m0, 0x880, m0                                    // 000000003D24: 807C7CFF 00000880
	s_add_i32 s60, s43, s60                                    // 000000003D2C: 813C3C2B
	s_waitcnt vmcnt(0)                                         // 000000003D30: BF8C0F70
	s_barrier                                                  // 000000003D34: BF8A0000
	ds_read_b128 v[192:195], v12                               // 000000003D38: D9FE0000 C000000C
	ds_read_b128 v[196:199], v12 offset:32                     // 000000003D40: D9FE0020 C400000C
	ds_read_b128 v[200:203], v12 offset:64                     // 000000003D48: D9FE0040 C800000C
	ds_read_b128 v[204:207], v12 offset:96                     // 000000003D50: D9FE0060 CC00000C
	ds_read_b128 v[208:211], v12 offset:128                    // 000000003D58: D9FE0080 D000000C
	ds_read_b128 v[212:215], v12 offset:160                    // 000000003D60: D9FE00A0 D400000C
	ds_read_b128 v[216:219], v12 offset:192                    // 000000003D68: D9FE00C0 D800000C
	ds_read_b128 v[220:223], v12 offset:224                    // 000000003D70: D9FE00E0 DC00000C
	s_waitcnt lgkmcnt(0)                                       // 000000003D78: BF8CC07F
	s_barrier                                                  // 000000003D7C: BF8A0000
	s_mov_b32 m0, s69                                          // 000000003D80: BEFC0045
	v_mfma_f32_32x32x8_bf16 v[64:79], v[192:193], v[160:161], 0// 000000003D84: D3E00040 020341C0
	buffer_load_dword v4, s[12:15], s60 offen lds              // 000000003D8C: E0511000 3C030004
	s_add_u32 m0, 0x880, m0                                    // 000000003D94: 807C7CFF 00000880
	v_mfma_f32_32x32x8_bf16 v[64:79], v[194:195], v[162:163], v[64:79]// 000000003D9C: D3E00040 050345C2
	v_mfma_f32_32x32x8_bf16 v[64:79], v[196:197], v[164:165], v[64:79]// 000000003DA4: D3E00040 050349C4
	buffer_load_dword v5, s[12:15], s60 offen lds              // 000000003DAC: E0511000 3C030005
	s_add_u32 m0, 0x880, m0                                    // 000000003DB4: 807C7CFF 00000880
	v_mfma_f32_32x32x8_bf16 v[64:79], v[198:199], v[166:167], v[64:79]// 000000003DBC: D3E00040 05034DC6
	v_mfma_f32_32x32x8_bf16 v[64:79], v[200:201], v[168:169], v[64:79]// 000000003DC4: D3E00040 050351C8
	buffer_load_dword v6, s[12:15], s60 offen lds              // 000000003DCC: E0511000 3C030006
	s_add_u32 m0, 0x880, m0                                    // 000000003DD4: 807C7CFF 00000880
	v_mfma_f32_32x32x8_bf16 v[64:79], v[202:203], v[170:171], v[64:79]// 000000003DDC: D3E00040 050355CA
	v_mfma_f32_32x32x8_bf16 v[64:79], v[204:205], v[172:173], v[64:79]// 000000003DE4: D3E00040 050359CC
	buffer_load_dword v7, s[12:15], s60 offen lds              // 000000003DEC: E0511000 3C030007
	s_add_u32 m0, 0x880, m0                                    // 000000003DF4: 807C7CFF 00000880
	v_mfma_f32_32x32x8_bf16 v[64:79], v[206:207], v[174:175], v[64:79]// 000000003DFC: D3E00040 05035DCE
	v_mfma_f32_32x32x8_bf16 v[64:79], v[208:209], v[176:177], v[64:79]// 000000003E04: D3E00040 050361D0
	buffer_load_dword v224, v8, s[16:19], s35 offen            // 000000003E0C: E0501000 2304E008
	v_mfma_f32_32x32x8_bf16 v[64:79], v[210:211], v[178:179], v[64:79]// 000000003E14: D3E00040 050365D2
	v_mfma_f32_32x32x8_bf16 v[64:79], v[212:213], v[180:181], v[64:79]// 000000003E1C: D3E00040 050369D4
	buffer_load_dword v225, v9, s[16:19], s35 offen            // 000000003E24: E0501000 2304E109
	v_mfma_f32_32x32x8_bf16 v[64:79], v[214:215], v[182:183], v[64:79]// 000000003E2C: D3E00040 05036DD6
	v_mfma_f32_32x32x8_bf16 v[64:79], v[216:217], v[184:185], v[64:79]// 000000003E34: D3E00040 050371D8
	buffer_load_dword v226, v10, s[16:19], s35 offen           // 000000003E3C: E0501000 2304E20A
	v_mfma_f32_32x32x8_bf16 v[64:79], v[218:219], v[186:187], v[64:79]// 000000003E44: D3E00040 050375DA
	v_mfma_f32_32x32x8_bf16 v[64:79], v[220:221], v[188:189], v[64:79]// 000000003E4C: D3E00040 050379DC
	buffer_load_dword v227, v11, s[16:19], s35 offen           // 000000003E54: E0501000 2304E30B
	v_mfma_f32_32x32x8_bf16 v[64:79], v[222:223], v[190:191], v[64:79]// 000000003E5C: D3E00040 05037DDE
	s_add_i32 s60, s43, s60                                    // 000000003E64: 813C3C2B
	s_add_i32 s35, s44, s35                                    // 000000003E68: 8123232C
	s_cmp_lt_i32 s52, s54                                      // 000000003E6C: BF043634
	s_cbranch_scc1 label_0320                                  // 000000003E70: BF850043
	s_sub_i32 s40, s7, s52                                     // 000000003E74: 81A83407
	v_sub_i32 v16, s40, v30                                    // 000000003E78: D29D0010 00023C28
	v_cmp_lt_i32_e64 s[72:73], 0, v16                          // 000000003E80: D0C10048 00022080
	v_cmp_lt_i32_e64 s[74:75], 1, v16                          // 000000003E88: D0C1004A 00022081
	v_cndmask_b32_e64 v64, v31, v64, s[72:73]                  // 000000003E90: D1000040 0122811F
	v_cndmask_b32_e64 v65, v31, v65, s[74:75]                  // 000000003E98: D1000041 012A831F
	v_cmp_lt_i32_e64 s[72:73], 2, v16                          // 000000003EA0: D0C10048 00022082
	v_cmp_lt_i32_e64 s[74:75], 3, v16                          // 000000003EA8: D0C1004A 00022083
	v_cndmask_b32_e64 v66, v31, v66, s[72:73]                  // 000000003EB0: D1000042 0122851F
	v_cndmask_b32_e64 v67, v31, v67, s[74:75]                  // 000000003EB8: D1000043 012A871F
	v_cmp_lt_i32_e64 s[72:73], 8, v16                          // 000000003EC0: D0C10048 00022088
	v_cmp_lt_i32_e64 s[74:75], 9, v16                          // 000000003EC8: D0C1004A 00022089
	v_cndmask_b32_e64 v68, v31, v68, s[72:73]                  // 000000003ED0: D1000044 0122891F
	v_cndmask_b32_e64 v69, v31, v69, s[74:75]                  // 000000003ED8: D1000045 012A8B1F
	v_cmp_lt_i32_e64 s[72:73], 10, v16                         // 000000003EE0: D0C10048 0002208A
	v_cmp_lt_i32_e64 s[74:75], 11, v16                         // 000000003EE8: D0C1004A 0002208B
	v_cndmask_b32_e64 v70, v31, v70, s[72:73]                  // 000000003EF0: D1000046 01228D1F
	v_cndmask_b32_e64 v71, v31, v71, s[74:75]                  // 000000003EF8: D1000047 012A8F1F
	v_cmp_lt_i32_e64 s[72:73], 16, v16                         // 000000003F00: D0C10048 00022090
	v_cmp_lt_i32_e64 s[74:75], 17, v16                         // 000000003F08: D0C1004A 00022091
	v_cndmask_b32_e64 v72, v31, v72, s[72:73]                  // 000000003F10: D1000048 0122911F
	v_cndmask_b32_e64 v73, v31, v73, s[74:75]                  // 000000003F18: D1000049 012A931F
	v_cmp_lt_i32_e64 s[72:73], 18, v16                         // 000000003F20: D0C10048 00022092
	v_cmp_lt_i32_e64 s[74:75], 19, v16                         // 000000003F28: D0C1004A 00022093
	v_cndmask_b32_e64 v74, v31, v74, s[72:73]                  // 000000003F30: D100004A 0122951F
	v_cndmask_b32_e64 v75, v31, v75, s[74:75]                  // 000000003F38: D100004B 012A971F
	v_cmp_lt_i32_e64 s[72:73], 24, v16                         // 000000003F40: D0C10048 00022098
	v_cmp_lt_i32_e64 s[74:75], 25, v16                         // 000000003F48: D0C1004A 00022099
	v_cndmask_b32_e64 v76, v31, v76, s[72:73]                  // 000000003F50: D100004C 0122991F
	v_cndmask_b32_e64 v77, v31, v77, s[74:75]                  // 000000003F58: D100004D 012A9B1F
	v_cmp_lt_i32_e64 s[72:73], 26, v16                         // 000000003F60: D0C10048 0002209A
	v_cmp_lt_i32_e64 s[74:75], 27, v16                         // 000000003F68: D0C1004A 0002209B
	v_cndmask_b32_e64 v78, v31, v78, s[72:73]                  // 000000003F70: D100004E 01229D1F
	v_cndmask_b32_e64 v79, v31, v79, s[74:75]                  // 000000003F78: D100004F 012A9F1F

0000000000003f80 <label_0320>:
	s_nop 0                                                    // 000000003F80: BF800000
	v_max3_f32 v25, v64, v65, v28                              // 000000003F84: D1D30019 04728340
	v_max3_f32 v25, v66, v67, v25                              // 000000003F8C: D1D30019 04668742
	v_max3_f32 v25, v68, v69, v25                              // 000000003F94: D1D30019 04668B44
	v_max3_f32 v25, v70, v71, v25                              // 000000003F9C: D1D30019 04668F46
	v_max3_f32 v25, v72, v73, v25                              // 000000003FA4: D1D30019 04669348
	v_max3_f32 v25, v74, v75, v25                              // 000000003FAC: D1D30019 0466974A
	v_max3_f32 v25, v76, v77, v25                              // 000000003FB4: D1D30019 04669B4C
	v_max3_f32 v25, v78, v79, v25                              // 000000003FBC: D1D30019 04669F4E
	ds_permute_b32 v24, v32, v25                               // 000000003FC4: D87C0000 18001920
	v_nop                                                      // 000000003FCC: 7E000000
	s_nop 0                                                    // 000000003FD0: BF800000
	v_nop                                                      // 000000003FD4: 7E000000
	s_waitcnt lgkmcnt(0)                                       // 000000003FD8: BF8CC07F
	v_max_f32_e32 v25, v24, v25                                // 000000003FDC: 16323318
	v_mov_b32_e32 v20, 0                                       // 000000003FE0: 7E280280
	v_mov_b32_e32 v28, v25                                     // 000000003FE4: 7E380319
	v_mul_f32_e32 v27, s56, v25                                // 000000003FE8: 0A363238
	v_mul_f32_e32 v20, s56, v20                                // 000000003FEC: 0A282838
	v_exp_f32_e32 v20, v20                                     // 000000003FF0: 7E284114
	v_fma_f32 v64, v64, s56, -v27                              // 000000003FF4: D1CB0040 846C7140
	v_fma_f32 v65, v65, s56, -v27                              // 000000003FFC: D1CB0041 846C7141
	v_fma_f32 v66, v66, s56, -v27                              // 000000004004: D1CB0042 846C7142
	v_fma_f32 v67, v67, s56, -v27                              // 00000000400C: D1CB0043 846C7143
	v_fma_f32 v68, v68, s56, -v27                              // 000000004014: D1CB0044 846C7144
	v_fma_f32 v69, v69, s56, -v27                              // 00000000401C: D1CB0045 846C7145
	v_fma_f32 v70, v70, s56, -v27                              // 000000004024: D1CB0046 846C7146
	v_fma_f32 v71, v71, s56, -v27                              // 00000000402C: D1CB0047 846C7147
	v_fma_f32 v72, v72, s56, -v27                              // 000000004034: D1CB0048 846C7148
	v_fma_f32 v73, v73, s56, -v27                              // 00000000403C: D1CB0049 846C7149
	v_fma_f32 v74, v74, s56, -v27                              // 000000004044: D1CB004A 846C714A
	v_fma_f32 v75, v75, s56, -v27                              // 00000000404C: D1CB004B 846C714B
	v_fma_f32 v76, v76, s56, -v27                              // 000000004054: D1CB004C 846C714C
	v_fma_f32 v77, v77, s56, -v27                              // 00000000405C: D1CB004D 846C714D
	v_fma_f32 v78, v78, s56, -v27                              // 000000004064: D1CB004E 846C714E
	v_fma_f32 v79, v79, s56, -v27                              // 00000000406C: D1CB004F 846C714F
	v_exp_f32_e32 v64, v64                                     // 000000004074: 7E804140
	v_exp_f32_e32 v65, v65                                     // 000000004078: 7E824141
	v_exp_f32_e32 v66, v66                                     // 00000000407C: 7E844142
	v_exp_f32_e32 v67, v67                                     // 000000004080: 7E864143
	v_exp_f32_e32 v68, v68                                     // 000000004084: 7E884144
	v_exp_f32_e32 v69, v69                                     // 000000004088: 7E8A4145
	v_exp_f32_e32 v70, v70                                     // 00000000408C: 7E8C4146
	v_exp_f32_e32 v71, v71                                     // 000000004090: 7E8E4147
	v_exp_f32_e32 v72, v72                                     // 000000004094: 7E904148
	v_exp_f32_e32 v73, v73                                     // 000000004098: 7E924149
	v_exp_f32_e32 v74, v74                                     // 00000000409C: 7E94414A
	v_exp_f32_e32 v75, v75                                     // 0000000040A0: 7E96414B
	v_exp_f32_e32 v76, v76                                     // 0000000040A4: 7E98414C
	v_exp_f32_e32 v77, v77                                     // 0000000040A8: 7E9A414D
	v_exp_f32_e32 v78, v78                                     // 0000000040AC: 7E9C414E
	s_addk_i32 s39, 0x20                                       // 0000000040B0: B7270020
	s_add_i32 s52, s52, s53                                    // 0000000040B4: 81343534
	s_mov_b32 m0, s68                                          // 0000000040B8: BEFC0044
	buffer_load_dword v4, s[12:15], s60 offen lds              // 0000000040BC: E0511000 3C030004
	s_add_u32 m0, 0x880, m0                                    // 0000000040C4: 807C7CFF 00000880
	buffer_load_dword v5, s[12:15], s60 offen lds              // 0000000040CC: E0511000 3C030005
	s_add_u32 m0, 0x880, m0                                    // 0000000040D4: 807C7CFF 00000880
	buffer_load_dword v6, s[12:15], s60 offen lds              // 0000000040DC: E0511000 3C030006
	s_add_u32 m0, 0x880, m0                                    // 0000000040E4: 807C7CFF 00000880
	buffer_load_dword v7, s[12:15], s60 offen lds              // 0000000040EC: E0511000 3C030007
	s_add_u32 m0, 0x880, m0                                    // 0000000040F4: 807C7CFF 00000880
	s_add_i32 s60, s43, s60                                    // 0000000040FC: 813C3C2B
	s_waitcnt vmcnt(8)                                         // 000000004100: BF8C0F78
	s_barrier                                                  // 000000004104: BF8A0000
	s_cmp_lt_i32 s39, s38                                      // 000000004108: BF042627
	s_cbranch_scc0 label_0A3E                                  // 00000000410C: BF8406BA
	s_cmp_lt_i32 s5, 4                                         // 000000004110: BF048405
	s_cbranch_scc0 label_06F3                                  // 000000004114: BF84036D
	buffer_load_dword v228, v8, s[16:19], s35 offen            // 000000004118: E0501000 2304E408
	buffer_load_dword v229, v9, s[16:19], s35 offen            // 000000004120: E0501000 2304E509
	buffer_load_dword v230, v10, s[16:19], s35 offen           // 000000004128: E0501000 2304E60A
	buffer_load_dword v231, v11, s[16:19], s35 offen           // 000000004130: E0501000 2304E70B
	s_add_i32 s35, s44, s35                                    // 000000004138: 8123232C
	ds_read_b128 v[192:195], v12 offset:8704                   // 00000000413C: D9FE2200 C000000C
	ds_read_b128 v[196:199], v12 offset:8736                   // 000000004144: D9FE2220 C400000C
	ds_read_b128 v[200:203], v12 offset:8768                   // 00000000414C: D9FE2240 C800000C
	ds_read_b128 v[204:207], v12 offset:8800                   // 000000004154: D9FE2260 CC00000C
	ds_read_b128 v[208:211], v12 offset:8832                   // 00000000415C: D9FE2280 D000000C
	ds_read_b128 v[212:215], v12 offset:8864                   // 000000004164: D9FE22A0 D400000C
	ds_read_b128 v[216:219], v12 offset:8896                   // 00000000416C: D9FE22C0 D800000C
	ds_read_b128 v[220:223], v12 offset:8928                   // 000000004174: D9FE22E0 DC00000C
	s_setprio 0                                                // 00000000417C: BF8F0000
	s_barrier                                                  // 000000004180: BF8A0000

0000000000004184 <label_03A1>:
	s_waitcnt lgkmcnt(0)                                       // 000000004184: BF8CC07F
	v_mfma_f32_32x32x8_bf16 v[80:95], v[192:193], v[160:161], 0// 000000004188: D3E00050 020341C0
	v_exp_f32_e32 v79, v79                                     // 000000004190: 7E9E414F
	v_mul_f32_e32 v22, v20, v22                                // 000000004194: 0A2C2D14
	v_add_f32_e32 v38, v65, v64                                // 000000004198: 024C8141
	v_add_f32_e32 v38, v66, v38                                // 00000000419C: 024C4D42
	v_mfma_f32_32x32x8_bf16 v[80:95], v[194:195], v[162:163], v[80:95]// 0000000041A0: D3E00050 054345C2
	v_add_f32_e32 v38, v67, v38                                // 0000000041A8: 024C4D43
	v_add_f32_e32 v38, v68, v38                                // 0000000041AC: 024C4D44
	v_add_f32_e32 v38, v69, v38                                // 0000000041B0: 024C4D45
	v_add_f32_e32 v38, v70, v38                                // 0000000041B4: 024C4D46
	v_add_f32_e32 v38, v71, v38                                // 0000000041B8: 024C4D47
	v_add_f32_e32 v38, v72, v38                                // 0000000041BC: 024C4D48
	v_add_f32_e32 v38, v73, v38                                // 0000000041C0: 024C4D49
	v_mfma_f32_32x32x8_bf16 v[80:95], v[196:197], v[164:165], v[80:95]// 0000000041C4: D3E00050 054349C4
	v_add_f32_e32 v38, v74, v38                                // 0000000041CC: 024C4D4A
	v_add_f32_e32 v38, v75, v38                                // 0000000041D0: 024C4D4B
	v_add_f32_e32 v38, v76, v38                                // 0000000041D4: 024C4D4C
	v_add_f32_e32 v38, v77, v38                                // 0000000041D8: 024C4D4D
	v_add_f32_e32 v38, v78, v38                                // 0000000041DC: 024C4D4E
	v_add_f32_e32 v38, v79, v38                                // 0000000041E0: 024C4D4F
	v_add_f32_e32 v22, v38, v22                                // 0000000041E4: 022C2D26
	v_mfma_f32_32x32x8_bf16 v[80:95], v[198:199], v[166:167], v[80:95]// 0000000041E8: D3E00050 05434DC6
	v_mul_f32_e32 v96, v20, v96                                // 0000000041F0: 0AC0C114
	v_mul_f32_e32 v97, v20, v97                                // 0000000041F4: 0AC2C314
	v_mul_f32_e32 v98, v20, v98                                // 0000000041F8: 0AC4C514
	v_mul_f32_e32 v99, v20, v99                                // 0000000041FC: 0AC6C714
	v_mul_f32_e32 v100, v20, v100                              // 000000004200: 0AC8C914
	v_mul_f32_e32 v101, v20, v101                              // 000000004204: 0ACACB14
	v_mul_f32_e32 v102, v20, v102                              // 000000004208: 0ACCCD14
	v_mfma_f32_32x32x8_bf16 v[80:95], v[200:201], v[168:169], v[80:95]// 00000000420C: D3E00050 054351C8
	v_mul_f32_e32 v103, v20, v103                              // 000000004214: 0ACECF14
	v_mul_f32_e32 v104, v20, v104                              // 000000004218: 0AD0D114
	v_mul_f32_e32 v105, v20, v105                              // 00000000421C: 0AD2D314
	v_mul_f32_e32 v106, v20, v106                              // 000000004220: 0AD4D514
	v_mul_f32_e32 v107, v20, v107                              // 000000004224: 0AD6D714
	v_mul_f32_e32 v108, v20, v108                              // 000000004228: 0AD8D914
	v_mul_f32_e32 v109, v20, v109                              // 00000000422C: 0ADADB14
	v_mfma_f32_32x32x8_bf16 v[80:95], v[202:203], v[170:171], v[80:95]// 000000004230: D3E00050 054355CA
	v_mul_f32_e32 v110, v20, v110                              // 000000004238: 0ADCDD14
	v_mul_f32_e32 v111, v20, v111                              // 00000000423C: 0ADEDF14
	v_mul_f32_e32 v112, v20, v112                              // 000000004240: 0AE0E114
	v_mul_f32_e32 v113, v20, v113                              // 000000004244: 0AE2E314
	v_mul_f32_e32 v114, v20, v114                              // 000000004248: 0AE4E514
	v_mul_f32_e32 v115, v20, v115                              // 00000000424C: 0AE6E714
	v_mul_f32_e32 v116, v20, v116                              // 000000004250: 0AE8E914
	v_mfma_f32_32x32x8_bf16 v[80:95], v[204:205], v[172:173], v[80:95]// 000000004254: D3E00050 054359CC
	v_mul_f32_e32 v117, v20, v117                              // 00000000425C: 0AEAEB14
	v_mul_f32_e32 v118, v20, v118                              // 000000004260: 0AECED14
	v_mul_f32_e32 v119, v20, v119                              // 000000004264: 0AEEEF14
	v_mul_f32_e32 v120, v20, v120                              // 000000004268: 0AF0F114
	v_mul_f32_e32 v121, v20, v121                              // 00000000426C: 0AF2F314
	v_mul_f32_e32 v122, v20, v122                              // 000000004270: 0AF4F514
	v_mul_f32_e32 v123, v20, v123                              // 000000004274: 0AF6F714
	v_mfma_f32_32x32x8_bf16 v[80:95], v[206:207], v[174:175], v[80:95]// 000000004278: D3E00050 05435DCE
	v_mul_f32_e32 v124, v20, v124                              // 000000004280: 0AF8F914
	v_mul_f32_e32 v125, v20, v125                              // 000000004284: 0AFAFB14
	v_mul_f32_e32 v126, v20, v126                              // 000000004288: 0AFCFD14
	v_mul_f32_e32 v127, v20, v127                              // 00000000428C: 0AFEFF14
	v_mul_f32_e32 v128, v20, v128                              // 000000004290: 0B010114
	v_mul_f32_e32 v129, v20, v129                              // 000000004294: 0B030314
	v_mul_f32_e32 v130, v20, v130                              // 000000004298: 0B050514
	v_mfma_f32_32x32x8_bf16 v[80:95], v[208:209], v[176:177], v[80:95]// 00000000429C: D3E00050 054361D0
	v_mul_f32_e32 v131, v20, v131                              // 0000000042A4: 0B070714
	v_mul_f32_e32 v132, v20, v132                              // 0000000042A8: 0B090914
	v_mul_f32_e32 v133, v20, v133                              // 0000000042AC: 0B0B0B14
	v_mul_f32_e32 v134, v20, v134                              // 0000000042B0: 0B0D0D14
	v_mul_f32_e32 v135, v20, v135                              // 0000000042B4: 0B0F0F14
	v_mul_f32_e32 v136, v20, v136                              // 0000000042B8: 0B111114
	v_mul_f32_e32 v137, v20, v137                              // 0000000042BC: 0B131314
	v_mfma_f32_32x32x8_bf16 v[80:95], v[210:211], v[178:179], v[80:95]// 0000000042C0: D3E00050 054365D2
	v_mul_f32_e32 v138, v20, v138                              // 0000000042C8: 0B151514
	v_mul_f32_e32 v139, v20, v139                              // 0000000042CC: 0B171714
	v_mul_f32_e32 v140, v20, v140                              // 0000000042D0: 0B191914
	v_mul_f32_e32 v141, v20, v141                              // 0000000042D4: 0B1B1B14
	v_mul_f32_e32 v142, v20, v142                              // 0000000042D8: 0B1D1D14
	v_mul_f32_e32 v143, v20, v143                              // 0000000042DC: 0B1F1F14
	v_mul_f32_e32 v144, v20, v144                              // 0000000042E0: 0B212114
	v_mfma_f32_32x32x8_bf16 v[80:95], v[212:213], v[180:181], v[80:95]// 0000000042E4: D3E00050 054369D4
	v_mul_f32_e32 v145, v20, v145                              // 0000000042EC: 0B232314
	v_mul_f32_e32 v146, v20, v146                              // 0000000042F0: 0B252514
	v_mul_f32_e32 v147, v20, v147                              // 0000000042F4: 0B272714
	v_mul_f32_e32 v148, v20, v148                              // 0000000042F8: 0B292914
	v_mul_f32_e32 v149, v20, v149                              // 0000000042FC: 0B2B2B14
	v_mul_f32_e32 v150, v20, v150                              // 000000004300: 0B2D2D14
	v_mul_f32_e32 v151, v20, v151                              // 000000004304: 0B2F2F14
	v_mfma_f32_32x32x8_bf16 v[80:95], v[214:215], v[182:183], v[80:95]// 000000004308: D3E00050 05436DD6
	s_waitcnt vmcnt(8)                                         // 000000004310: BF8C0F78
	s_barrier                                                  // 000000004314: BF8A0000
	v_mfma_f32_32x32x8_bf16 v[80:95], v[216:217], v[184:185], v[80:95]// 000000004318: D3E00050 054371D8
	v_mul_f32_e32 v152, v20, v152                              // 000000004320: 0B313114
	v_mul_f32_e32 v153, v20, v153                              // 000000004324: 0B333314
	v_mul_f32_e32 v154, v20, v154                              // 000000004328: 0B353514
	v_mul_f32_e32 v155, v20, v155                              // 00000000432C: 0B373714
	v_mul_f32_e32 v156, v20, v156                              // 000000004330: 0B393914
	v_mul_f32_e32 v157, v20, v157                              // 000000004334: 0B3B3B14
	v_mul_f32_e32 v158, v20, v158                              // 000000004338: 0B3D3D14
	v_mfma_f32_32x32x8_bf16 v[80:95], v[218:219], v[186:187], v[80:95]// 00000000433C: D3E00050 054375DA
	v_mul_f32_e32 v159, v20, v159                              // 000000004344: 0B3F3F14
	v_perm_b32 v64, v65, v64, s49                              // 000000004348: D1ED0040 00C68141
	v_perm_b32 v65, v67, v66, s49                              // 000000004350: D1ED0041 00C68543
	v_perm_b32 v66, v69, v68, s49                              // 000000004358: D1ED0042 00C68945
	v_mfma_f32_32x32x8_bf16 v[80:95], v[220:221], v[188:189], v[80:95]// 000000004360: D3E00050 054379DC
	v_perm_b32 v67, v71, v70, s49                              // 000000004368: D1ED0043 00C68D47
	v_perm_b32 v68, v73, v72, s49                              // 000000004370: D1ED0044 00C69149
	v_perm_b32 v69, v75, v74, s49                              // 000000004378: D1ED0045 00C6954B
	v_perm_b32 v70, v77, v76, s49                              // 000000004380: D1ED0046 00C6994D
	v_perm_b32 v71, v79, v78, s49                              // 000000004388: D1ED0047 00C69D4F
	v_mfma_f32_32x32x8_bf16 v[80:95], v[222:223], v[190:191], v[80:95]// 000000004390: D3E00050 05437DDE
	v_perm_b32 v232, v225, v224, s50                           // 000000004398: D1ED00E8 00CBC1E1
	v_perm_b32 v234, v225, v224, s49                           // 0000000043A0: D1ED00EA 00C7C1E1
	v_perm_b32 v233, v227, v226, s50                           // 0000000043A8: D1ED00E9 00CBC5E3
	v_perm_b32 v235, v227, v226, s49                           // 0000000043B0: D1ED00EB 00C7C5E3
	s_barrier                                                  // 0000000043B8: BF8A0000
	ds_write_b64 v14, v[232:233] offset:17408                  // 0000000043BC: D89A4400 0000E80E
	ds_write_b64 v14, v[234:235] offset:21568                  // 0000000043C4: D89A5440 0000EA0E
	s_waitcnt lgkmcnt(0)                                       // 0000000043CC: BF8CC07F
	s_barrier                                                  // 0000000043D0: BF8A0000
	s_mov_b32 m0, s69                                          // 0000000043D4: BEFC0045
	ds_read_b64 v[192:193], v13 offset:17408                   // 0000000043D8: D8EC4400 C000000D
	ds_read_b64 v[194:195], v13 offset:18432                   // 0000000043E0: D8EC4800 C200000D
	ds_read_b64 v[196:197], v13 offset:19456                   // 0000000043E8: D8EC4C00 C400000D
	ds_read_b64 v[198:199], v13 offset:20480                   // 0000000043F0: D8EC5000 C600000D
	buffer_load_dword v4, s[12:15], s60 offen lds              // 0000000043F8: E0511000 3C030004
	s_add_u32 m0, 0x880, m0                                    // 000000004400: 807C7CFF 00000880
	ds_read_b64 v[200:201], v13 offset:17536                   // 000000004408: D8EC4480 C800000D
	ds_read_b64 v[202:203], v13 offset:18560                   // 000000004410: D8EC4880 CA00000D
	ds_read_b64 v[204:205], v13 offset:19584                   // 000000004418: D8EC4C80 CC00000D
	ds_read_b64 v[206:207], v13 offset:20608                   // 000000004420: D8EC5080 CE00000D
	buffer_load_dword v5, s[12:15], s60 offen lds              // 000000004428: E0511000 3C030005
	s_add_u32 m0, 0x880, m0                                    // 000000004430: 807C7CFF 00000880
	ds_read_b64 v[208:209], v13 offset:17664                   // 000000004438: D8EC4500 D000000D
	ds_read_b64 v[210:211], v13 offset:18688                   // 000000004440: D8EC4900 D200000D
	ds_read_b64 v[212:213], v13 offset:19712                   // 000000004448: D8EC4D00 D400000D
	ds_read_b64 v[214:215], v13 offset:20736                   // 000000004450: D8EC5100 D600000D
	buffer_load_dword v6, s[12:15], s60 offen lds              // 000000004458: E0511000 3C030006
	s_add_u32 m0, 0x880, m0                                    // 000000004460: 807C7CFF 00000880
	ds_read_b64 v[216:217], v13 offset:17792                   // 000000004468: D8EC4580 D800000D
	ds_read_b64 v[218:219], v13 offset:18816                   // 000000004470: D8EC4980 DA00000D
	ds_read_b64 v[220:221], v13 offset:19840                   // 000000004478: D8EC4D80 DC00000D
	ds_read_b64 v[222:223], v13 offset:20864                   // 000000004480: D8EC5180 DE00000D
	buffer_load_dword v7, s[12:15], s60 offen lds              // 000000004488: E0511000 3C030007
	s_add_u32 m0, 0x880, m0                                    // 000000004490: 807C7CFF 00000880
	s_add_i32 s60, s43, s60                                    // 000000004498: 813C3C2B
	s_add_u32 s40, 0x80, s39                                   // 00000000449C: 802827FF 00000080
	s_cmp_lt_u32 s40, s38                                      // 0000000044A4: BF0A2628
	s_cselect_b32 s43, s43, 0                                  // 0000000044A8: 852B802B
	s_nop 0                                                    // 0000000044AC: BF800000
	s_cmp_lt_i32 s52, s54                                      // 0000000044B0: BF043634
	s_cbranch_scc1 label_04B1                                  // 0000000044B4: BF850043
	s_sub_i32 s40, s7, s52                                     // 0000000044B8: 81A83407
	v_sub_i32 v16, s40, v30                                    // 0000000044BC: D29D0010 00023C28
	v_cmp_lt_i32_e64 s[72:73], 0, v16                          // 0000000044C4: D0C10048 00022080
	v_cmp_lt_i32_e64 s[74:75], 1, v16                          // 0000000044CC: D0C1004A 00022081
	v_cndmask_b32_e64 v80, v31, v80, s[72:73]                  // 0000000044D4: D1000050 0122A11F
	v_cndmask_b32_e64 v81, v31, v81, s[74:75]                  // 0000000044DC: D1000051 012AA31F
	v_cmp_lt_i32_e64 s[72:73], 2, v16                          // 0000000044E4: D0C10048 00022082
	v_cmp_lt_i32_e64 s[74:75], 3, v16                          // 0000000044EC: D0C1004A 00022083
	v_cndmask_b32_e64 v82, v31, v82, s[72:73]                  // 0000000044F4: D1000052 0122A51F
	v_cndmask_b32_e64 v83, v31, v83, s[74:75]                  // 0000000044FC: D1000053 012AA71F
	v_cmp_lt_i32_e64 s[72:73], 8, v16                          // 000000004504: D0C10048 00022088
	v_cmp_lt_i32_e64 s[74:75], 9, v16                          // 00000000450C: D0C1004A 00022089
	v_cndmask_b32_e64 v84, v31, v84, s[72:73]                  // 000000004514: D1000054 0122A91F
	v_cndmask_b32_e64 v85, v31, v85, s[74:75]                  // 00000000451C: D1000055 012AAB1F
	v_cmp_lt_i32_e64 s[72:73], 10, v16                         // 000000004524: D0C10048 0002208A
	v_cmp_lt_i32_e64 s[74:75], 11, v16                         // 00000000452C: D0C1004A 0002208B
	v_cndmask_b32_e64 v86, v31, v86, s[72:73]                  // 000000004534: D1000056 0122AD1F
	v_cndmask_b32_e64 v87, v31, v87, s[74:75]                  // 00000000453C: D1000057 012AAF1F
	v_cmp_lt_i32_e64 s[72:73], 16, v16                         // 000000004544: D0C10048 00022090
	v_cmp_lt_i32_e64 s[74:75], 17, v16                         // 00000000454C: D0C1004A 00022091
	v_cndmask_b32_e64 v88, v31, v88, s[72:73]                  // 000000004554: D1000058 0122B11F
	v_cndmask_b32_e64 v89, v31, v89, s[74:75]                  // 00000000455C: D1000059 012AB31F
	v_cmp_lt_i32_e64 s[72:73], 18, v16                         // 000000004564: D0C10048 00022092
	v_cmp_lt_i32_e64 s[74:75], 19, v16                         // 00000000456C: D0C1004A 00022093
	v_cndmask_b32_e64 v90, v31, v90, s[72:73]                  // 000000004574: D100005A 0122B51F
	v_cndmask_b32_e64 v91, v31, v91, s[74:75]                  // 00000000457C: D100005B 012AB71F
	v_cmp_lt_i32_e64 s[72:73], 24, v16                         // 000000004584: D0C10048 00022098
	v_cmp_lt_i32_e64 s[74:75], 25, v16                         // 00000000458C: D0C1004A 00022099
	v_cndmask_b32_e64 v92, v31, v92, s[72:73]                  // 000000004594: D100005C 0122B91F
	v_cndmask_b32_e64 v93, v31, v93, s[74:75]                  // 00000000459C: D100005D 012ABB1F
	v_cmp_lt_i32_e64 s[72:73], 26, v16                         // 0000000045A4: D0C10048 0002209A
	v_cmp_lt_i32_e64 s[74:75], 27, v16                         // 0000000045AC: D0C1004A 0002209B
	v_cndmask_b32_e64 v94, v31, v94, s[72:73]                  // 0000000045B4: D100005E 0122BD1F
	v_cndmask_b32_e64 v95, v31, v95, s[74:75]                  // 0000000045BC: D100005F 012ABF1F

00000000000045c4 <label_04B1>:
	s_nop 0                                                    // 0000000045C4: BF800000
	s_waitcnt lgkmcnt(0)                                       // 0000000045C8: BF8CC07F
	s_barrier                                                  // 0000000045CC: BF8A0000
	v_mfma_f32_32x32x8_bf16 v[96:111], v[192:193], v[64:65], v[96:111]// 0000000045D0: D3E00060 058281C0
	v_max3_f32 v25, v80, v81, v28                              // 0000000045D8: D1D30019 0472A350
	v_max3_f32 v25, v82, v83, v25                              // 0000000045E0: D1D30019 0466A752
	v_max3_f32 v25, v84, v85, v25                              // 0000000045E8: D1D30019 0466AB54
	v_max3_f32 v25, v86, v87, v25                              // 0000000045F0: D1D30019 0466AF56
	v_max3_f32 v25, v88, v89, v25                              // 0000000045F8: D1D30019 0466B358
	v_max3_f32 v25, v90, v91, v25                              // 000000004600: D1D30019 0466B75A
	v_max3_f32 v25, v92, v93, v25                              // 000000004608: D1D30019 0466BB5C
	v_mfma_f32_32x32x8_bf16 v[96:111], v[194:195], v[66:67], v[96:111]// 000000004610: D3E00060 058285C2
	v_max3_f32 v25, v94, v95, v25                              // 000000004618: D1D30019 0466BF5E
	ds_permute_b32 v24, v32, v25                               // 000000004620: D87C0000 18001920
	v_mfma_f32_32x32x8_bf16 v[96:111], v[196:197], v[68:69], v[96:111]// 000000004628: D3E00060 058289C4
	v_nop                                                      // 000000004630: 7E000000
	s_nop 0                                                    // 000000004634: BF800000
	v_mfma_f32_32x32x8_bf16 v[96:111], v[198:199], v[70:71], v[96:111]// 000000004638: D3E00060 05828DC6
	v_nop                                                      // 000000004640: 7E000000
	v_mfma_f32_32x32x8_bf16 v[112:127], v[200:201], v[64:65], v[112:127]// 000000004644: D3E00070 05C281C8
	s_waitcnt lgkmcnt(0)                                       // 00000000464C: BF8CC07F
	v_max_f32_e32 v25, v24, v25                                // 000000004650: 16323318
	v_sub_f32_e32 v20, v28, v25                                // 000000004654: 0428331C
	v_mov_b32_e32 v28, v25                                     // 000000004658: 7E380319
	v_mul_f32_e32 v27, s56, v25                                // 00000000465C: 0A363238
	v_mul_f32_e32 v20, s56, v20                                // 000000004660: 0A282838
	v_mfma_f32_32x32x8_bf16 v[112:127], v[202:203], v[66:67], v[112:127]// 000000004664: D3E00070 05C285CA
	v_exp_f32_e32 v20, v20                                     // 00000000466C: 7E284114
	v_fma_f32 v80, v80, s56, -v27                              // 000000004670: D1CB0050 846C7150
	v_fma_f32 v81, v81, s56, -v27                              // 000000004678: D1CB0051 846C7151
	v_fma_f32 v82, v82, s56, -v27                              // 000000004680: D1CB0052 846C7152
	v_mfma_f32_32x32x8_bf16 v[112:127], v[204:205], v[68:69], v[112:127]// 000000004688: D3E00070 05C289CC
	v_fma_f32 v83, v83, s56, -v27                              // 000000004690: D1CB0053 846C7153
	v_fma_f32 v84, v84, s56, -v27                              // 000000004698: D1CB0054 846C7154
	v_fma_f32 v85, v85, s56, -v27                              // 0000000046A0: D1CB0055 846C7155
	v_fma_f32 v86, v86, s56, -v27                              // 0000000046A8: D1CB0056 846C7156
	v_fma_f32 v87, v87, s56, -v27                              // 0000000046B0: D1CB0057 846C7157
	v_fma_f32 v88, v88, s56, -v27                              // 0000000046B8: D1CB0058 846C7158
	v_fma_f32 v89, v89, s56, -v27                              // 0000000046C0: D1CB0059 846C7159
	v_mfma_f32_32x32x8_bf16 v[112:127], v[206:207], v[70:71], v[112:127]// 0000000046C8: D3E00070 05C28DCE
	v_fma_f32 v90, v90, s56, -v27                              // 0000000046D0: D1CB005A 846C715A
	v_fma_f32 v91, v91, s56, -v27                              // 0000000046D8: D1CB005B 846C715B
	v_fma_f32 v92, v92, s56, -v27                              // 0000000046E0: D1CB005C 846C715C
	v_fma_f32 v93, v93, s56, -v27                              // 0000000046E8: D1CB005D 846C715D
	v_fma_f32 v94, v94, s56, -v27                              // 0000000046F0: D1CB005E 846C715E
	v_fma_f32 v95, v95, s56, -v27                              // 0000000046F8: D1CB005F 846C715F
	v_exp_f32_e32 v80, v80                                     // 000000004700: 7EA04150
	v_mfma_f32_32x32x8_bf16 v[128:143], v[208:209], v[64:65], v[128:143]// 000000004704: D3E00080 060281D0
	v_exp_f32_e32 v81, v81                                     // 00000000470C: 7EA24151
	v_exp_f32_e32 v82, v82                                     // 000000004710: 7EA44152
	v_mfma_f32_32x32x8_bf16 v[128:143], v[210:211], v[66:67], v[128:143]// 000000004714: D3E00080 060285D2
	v_exp_f32_e32 v83, v83                                     // 00000000471C: 7EA64153
	v_exp_f32_e32 v84, v84                                     // 000000004720: 7EA84154
	v_mfma_f32_32x32x8_bf16 v[128:143], v[212:213], v[68:69], v[128:143]// 000000004724: D3E00080 060289D4
	v_exp_f32_e32 v85, v85                                     // 00000000472C: 7EAA4155
	v_exp_f32_e32 v86, v86                                     // 000000004730: 7EAC4156
	v_mfma_f32_32x32x8_bf16 v[128:143], v[214:215], v[70:71], v[128:143]// 000000004734: D3E00080 06028DD6
	v_exp_f32_e32 v87, v87                                     // 00000000473C: 7EAE4157
	v_exp_f32_e32 v88, v88                                     // 000000004740: 7EB04158
	v_mfma_f32_32x32x8_bf16 v[144:159], v[216:217], v[64:65], v[144:159]// 000000004744: D3E00090 064281D8
	v_exp_f32_e32 v89, v89                                     // 00000000474C: 7EB24159
	v_exp_f32_e32 v90, v90                                     // 000000004750: 7EB4415A
	v_mfma_f32_32x32x8_bf16 v[144:159], v[218:219], v[66:67], v[144:159]// 000000004754: D3E00090 064285DA
	v_exp_f32_e32 v91, v91                                     // 00000000475C: 7EB6415B
	v_exp_f32_e32 v92, v92                                     // 000000004760: 7EB8415C
	v_mfma_f32_32x32x8_bf16 v[144:159], v[220:221], v[68:69], v[144:159]// 000000004764: D3E00090 064289DC
	v_exp_f32_e32 v93, v93                                     // 00000000476C: 7EBA415D
	v_exp_f32_e32 v94, v94                                     // 000000004770: 7EBC415E
	v_mfma_f32_32x32x8_bf16 v[144:159], v[222:223], v[70:71], v[144:159]// 000000004774: D3E00090 06428DDE
	s_waitcnt vmcnt(8)                                         // 00000000477C: BF8C0F78
	s_barrier                                                  // 000000004780: BF8A0000
	s_nop 11                                                   // 000000004784: BF80000B
	s_nop 11                                                   // 000000004788: BF80000B
	ds_read_b128 v[192:195], v12                               // 00000000478C: D9FE0000 C000000C
	ds_read_b128 v[196:199], v12 offset:32                     // 000000004794: D9FE0020 C400000C
	ds_read_b128 v[200:203], v12 offset:64                     // 00000000479C: D9FE0040 C800000C
	ds_read_b128 v[204:207], v12 offset:96                     // 0000000047A4: D9FE0060 CC00000C
	s_nop 15                                                   // 0000000047AC: BF80000F
	s_nop 15                                                   // 0000000047B0: BF80000F
	s_nop 10                                                   // 0000000047B4: BF80000A
	buffer_load_dword v224, v8, s[16:19], s35 offen            // 0000000047B8: E0501000 2304E008
	ds_read_b128 v[208:211], v12 offset:128                    // 0000000047C0: D9FE0080 D000000C
	ds_read_b128 v[212:215], v12 offset:160                    // 0000000047C8: D9FE00A0 D400000C
	buffer_load_dword v225, v9, s[16:19], s35 offen            // 0000000047D0: E0501000 2304E109
	ds_read_b128 v[216:219], v12 offset:192                    // 0000000047D8: D9FE00C0 D800000C
	ds_read_b128 v[220:223], v12 offset:224                    // 0000000047E0: D9FE00E0 DC00000C
	buffer_load_dword v226, v10, s[16:19], s35 offen           // 0000000047E8: E0501000 2304E20A
	buffer_load_dword v227, v11, s[16:19], s35 offen           // 0000000047F0: E0501000 2304E30B
	s_add_i32 s35, s44, s35                                    // 0000000047F8: 8123232C
	s_add_u32 s40, 0x60, s39                                   // 0000000047FC: 802827FF 00000060
	s_nop 0                                                    // 000000004804: BF800000
	s_cmp_lt_u32 s40, s38                                      // 000000004808: BF0A2628
	s_cselect_b32 s44, s44, 0                                  // 00000000480C: 852C802C
	s_add_i32 s52, s52, s53                                    // 000000004810: 81343534
	s_addk_i32 s39, 0x20                                       // 000000004814: B7270020
	s_cmp_lt_i32 s39, s38                                      // 000000004818: BF042627
	s_nop 0                                                    // 00000000481C: BF800000
	s_cbranch_scc0 label_0A3E                                  // 000000004820: BF8404F5
	s_waitcnt lgkmcnt(0)                                       // 000000004824: BF8CC07F
	v_mfma_f32_32x32x8_bf16 v[64:79], v[192:193], v[160:161], 0// 000000004828: D3E00040 020341C0
	v_exp_f32_e32 v95, v95                                     // 000000004830: 7EBE415F
	v_mul_f32_e32 v22, v20, v22                                // 000000004834: 0A2C2D14
	v_add_f32_e32 v38, v81, v80                                // 000000004838: 024CA151
	v_add_f32_e32 v38, v82, v38                                // 00000000483C: 024C4D52
	v_mfma_f32_32x32x8_bf16 v[64:79], v[194:195], v[162:163], v[64:79]// 000000004840: D3E00040 050345C2
	v_add_f32_e32 v38, v83, v38                                // 000000004848: 024C4D53
	v_add_f32_e32 v38, v84, v38                                // 00000000484C: 024C4D54
	v_add_f32_e32 v38, v85, v38                                // 000000004850: 024C4D55
	v_add_f32_e32 v38, v86, v38                                // 000000004854: 024C4D56
	v_add_f32_e32 v38, v87, v38                                // 000000004858: 024C4D57
	v_add_f32_e32 v38, v88, v38                                // 00000000485C: 024C4D58
	v_add_f32_e32 v38, v89, v38                                // 000000004860: 024C4D59
	v_mfma_f32_32x32x8_bf16 v[64:79], v[196:197], v[164:165], v[64:79]// 000000004864: D3E00040 050349C4
	v_add_f32_e32 v38, v90, v38                                // 00000000486C: 024C4D5A
	v_add_f32_e32 v38, v91, v38                                // 000000004870: 024C4D5B
	v_add_f32_e32 v38, v92, v38                                // 000000004874: 024C4D5C
	v_add_f32_e32 v38, v93, v38                                // 000000004878: 024C4D5D
	v_add_f32_e32 v38, v94, v38                                // 00000000487C: 024C4D5E
	v_add_f32_e32 v38, v95, v38                                // 000000004880: 024C4D5F
	v_add_f32_e32 v22, v38, v22                                // 000000004884: 022C2D26
	v_mfma_f32_32x32x8_bf16 v[64:79], v[198:199], v[166:167], v[64:79]// 000000004888: D3E00040 05034DC6
	v_mul_f32_e32 v96, v20, v96                                // 000000004890: 0AC0C114
	v_mul_f32_e32 v97, v20, v97                                // 000000004894: 0AC2C314
	v_mul_f32_e32 v98, v20, v98                                // 000000004898: 0AC4C514
	v_mul_f32_e32 v99, v20, v99                                // 00000000489C: 0AC6C714
	v_mul_f32_e32 v100, v20, v100                              // 0000000048A0: 0AC8C914
	v_mul_f32_e32 v101, v20, v101                              // 0000000048A4: 0ACACB14
	v_mul_f32_e32 v102, v20, v102                              // 0000000048A8: 0ACCCD14
	v_mfma_f32_32x32x8_bf16 v[64:79], v[200:201], v[168:169], v[64:79]// 0000000048AC: D3E00040 050351C8
	v_mul_f32_e32 v103, v20, v103                              // 0000000048B4: 0ACECF14
	v_mul_f32_e32 v104, v20, v104                              // 0000000048B8: 0AD0D114
	v_mul_f32_e32 v105, v20, v105                              // 0000000048BC: 0AD2D314
	v_mul_f32_e32 v106, v20, v106                              // 0000000048C0: 0AD4D514
	v_mul_f32_e32 v107, v20, v107                              // 0000000048C4: 0AD6D714
	v_mul_f32_e32 v108, v20, v108                              // 0000000048C8: 0AD8D914
	v_mul_f32_e32 v109, v20, v109                              // 0000000048CC: 0ADADB14
	v_mfma_f32_32x32x8_bf16 v[64:79], v[202:203], v[170:171], v[64:79]// 0000000048D0: D3E00040 050355CA
	v_mul_f32_e32 v110, v20, v110                              // 0000000048D8: 0ADCDD14
	v_mul_f32_e32 v111, v20, v111                              // 0000000048DC: 0ADEDF14
	v_mul_f32_e32 v112, v20, v112                              // 0000000048E0: 0AE0E114
	v_mul_f32_e32 v113, v20, v113                              // 0000000048E4: 0AE2E314
	v_mul_f32_e32 v114, v20, v114                              // 0000000048E8: 0AE4E514
	v_mul_f32_e32 v115, v20, v115                              // 0000000048EC: 0AE6E714
	v_mul_f32_e32 v116, v20, v116                              // 0000000048F0: 0AE8E914
	v_mfma_f32_32x32x8_bf16 v[64:79], v[204:205], v[172:173], v[64:79]// 0000000048F4: D3E00040 050359CC
	v_mul_f32_e32 v117, v20, v117                              // 0000000048FC: 0AEAEB14
	v_mul_f32_e32 v118, v20, v118                              // 000000004900: 0AECED14
	v_mul_f32_e32 v119, v20, v119                              // 000000004904: 0AEEEF14
	v_mul_f32_e32 v120, v20, v120                              // 000000004908: 0AF0F114
	v_mul_f32_e32 v121, v20, v121                              // 00000000490C: 0AF2F314
	v_mul_f32_e32 v122, v20, v122                              // 000000004910: 0AF4F514
	v_mul_f32_e32 v123, v20, v123                              // 000000004914: 0AF6F714
	v_mfma_f32_32x32x8_bf16 v[64:79], v[206:207], v[174:175], v[64:79]// 000000004918: D3E00040 05035DCE
	v_mul_f32_e32 v124, v20, v124                              // 000000004920: 0AF8F914
	v_mul_f32_e32 v125, v20, v125                              // 000000004924: 0AFAFB14
	v_mul_f32_e32 v126, v20, v126                              // 000000004928: 0AFCFD14
	v_mul_f32_e32 v127, v20, v127                              // 00000000492C: 0AFEFF14
	v_mul_f32_e32 v128, v20, v128                              // 000000004930: 0B010114
	v_mul_f32_e32 v129, v20, v129                              // 000000004934: 0B030314
	v_mul_f32_e32 v130, v20, v130                              // 000000004938: 0B050514
	v_mfma_f32_32x32x8_bf16 v[64:79], v[208:209], v[176:177], v[64:79]// 00000000493C: D3E00040 050361D0
	v_mul_f32_e32 v131, v20, v131                              // 000000004944: 0B070714
	v_mul_f32_e32 v132, v20, v132                              // 000000004948: 0B090914
	v_mul_f32_e32 v133, v20, v133                              // 00000000494C: 0B0B0B14
	v_mul_f32_e32 v134, v20, v134                              // 000000004950: 0B0D0D14
	v_mul_f32_e32 v135, v20, v135                              // 000000004954: 0B0F0F14
	v_mul_f32_e32 v136, v20, v136                              // 000000004958: 0B111114
	v_mul_f32_e32 v137, v20, v137                              // 00000000495C: 0B131314
	v_mfma_f32_32x32x8_bf16 v[64:79], v[210:211], v[178:179], v[64:79]// 000000004960: D3E00040 050365D2
	v_mul_f32_e32 v138, v20, v138                              // 000000004968: 0B151514
	v_mul_f32_e32 v139, v20, v139                              // 00000000496C: 0B171714
	v_mul_f32_e32 v140, v20, v140                              // 000000004970: 0B191914
	v_mul_f32_e32 v141, v20, v141                              // 000000004974: 0B1B1B14
	v_mul_f32_e32 v142, v20, v142                              // 000000004978: 0B1D1D14
	v_mul_f32_e32 v143, v20, v143                              // 00000000497C: 0B1F1F14
	v_mul_f32_e32 v144, v20, v144                              // 000000004980: 0B212114
	v_mfma_f32_32x32x8_bf16 v[64:79], v[212:213], v[180:181], v[64:79]// 000000004984: D3E00040 050369D4
	v_mul_f32_e32 v145, v20, v145                              // 00000000498C: 0B232314
	v_mul_f32_e32 v146, v20, v146                              // 000000004990: 0B252514
	v_mul_f32_e32 v147, v20, v147                              // 000000004994: 0B272714
	v_mul_f32_e32 v148, v20, v148                              // 000000004998: 0B292914
	v_mul_f32_e32 v149, v20, v149                              // 00000000499C: 0B2B2B14
	v_mul_f32_e32 v150, v20, v150                              // 0000000049A0: 0B2D2D14
	v_mul_f32_e32 v151, v20, v151                              // 0000000049A4: 0B2F2F14
	v_mfma_f32_32x32x8_bf16 v[64:79], v[214:215], v[182:183], v[64:79]// 0000000049A8: D3E00040 05036DD6
	s_waitcnt vmcnt(8)                                         // 0000000049B0: BF8C0F78
	s_barrier                                                  // 0000000049B4: BF8A0000
	v_mfma_f32_32x32x8_bf16 v[64:79], v[216:217], v[184:185], v[64:79]// 0000000049B8: D3E00040 050371D8
	v_mul_f32_e32 v152, v20, v152                              // 0000000049C0: 0B313114
	v_mul_f32_e32 v153, v20, v153                              // 0000000049C4: 0B333314
	v_mul_f32_e32 v154, v20, v154                              // 0000000049C8: 0B353514
	v_mul_f32_e32 v155, v20, v155                              // 0000000049CC: 0B373714
	v_mul_f32_e32 v156, v20, v156                              // 0000000049D0: 0B393914
	v_mul_f32_e32 v157, v20, v157                              // 0000000049D4: 0B3B3B14
	v_mul_f32_e32 v158, v20, v158                              // 0000000049D8: 0B3D3D14
	v_mfma_f32_32x32x8_bf16 v[64:79], v[218:219], v[186:187], v[64:79]// 0000000049DC: D3E00040 050375DA
	v_mul_f32_e32 v159, v20, v159                              // 0000000049E4: 0B3F3F14
	v_perm_b32 v80, v81, v80, s49                              // 0000000049E8: D1ED0050 00C6A151
	v_perm_b32 v81, v83, v82, s49                              // 0000000049F0: D1ED0051 00C6A553
	v_perm_b32 v82, v85, v84, s49                              // 0000000049F8: D1ED0052 00C6A955
	v_mfma_f32_32x32x8_bf16 v[64:79], v[220:221], v[188:189], v[64:79]// 000000004A00: D3E00040 050379DC
	v_perm_b32 v83, v87, v86, s49                              // 000000004A08: D1ED0053 00C6AD57
	v_perm_b32 v84, v89, v88, s49                              // 000000004A10: D1ED0054 00C6B159
	v_perm_b32 v85, v91, v90, s49                              // 000000004A18: D1ED0055 00C6B55B
	v_perm_b32 v86, v93, v92, s49                              // 000000004A20: D1ED0056 00C6B95D
	v_perm_b32 v87, v95, v94, s49                              // 000000004A28: D1ED0057 00C6BD5F
	v_mfma_f32_32x32x8_bf16 v[64:79], v[222:223], v[190:191], v[64:79]// 000000004A30: D3E00040 05037DDE
	v_perm_b32 v232, v229, v228, s50                           // 000000004A38: D1ED00E8 00CBC9E5
	v_perm_b32 v234, v229, v228, s49                           // 000000004A40: D1ED00EA 00C7C9E5
	v_perm_b32 v233, v231, v230, s50                           // 000000004A48: D1ED00E9 00CBCDE7
	v_perm_b32 v235, v231, v230, s49                           // 000000004A50: D1ED00EB 00C7CDE7
	s_barrier                                                  // 000000004A58: BF8A0000
	ds_write_b64 v14, v[232:233] offset:17408                  // 000000004A5C: D89A4400 0000E80E
	ds_write_b64 v14, v[234:235] offset:21568                  // 000000004A64: D89A5440 0000EA0E
	s_waitcnt lgkmcnt(0)                                       // 000000004A6C: BF8CC07F
	s_barrier                                                  // 000000004A70: BF8A0000
	s_mov_b32 m0, s68                                          // 000000004A74: BEFC0044
	ds_read_b64 v[192:193], v13 offset:17408                   // 000000004A78: D8EC4400 C000000D
	ds_read_b64 v[194:195], v13 offset:18432                   // 000000004A80: D8EC4800 C200000D
	ds_read_b64 v[196:197], v13 offset:19456                   // 000000004A88: D8EC4C00 C400000D
	ds_read_b64 v[198:199], v13 offset:20480                   // 000000004A90: D8EC5000 C600000D
	buffer_load_dword v4, s[12:15], s60 offen lds              // 000000004A98: E0511000 3C030004
	s_add_u32 m0, 0x880, m0                                    // 000000004AA0: 807C7CFF 00000880
	ds_read_b64 v[200:201], v13 offset:17536                   // 000000004AA8: D8EC4480 C800000D
	ds_read_b64 v[202:203], v13 offset:18560                   // 000000004AB0: D8EC4880 CA00000D
	ds_read_b64 v[204:205], v13 offset:19584                   // 000000004AB8: D8EC4C80 CC00000D
	ds_read_b64 v[206:207], v13 offset:20608                   // 000000004AC0: D8EC5080 CE00000D
	buffer_load_dword v5, s[12:15], s60 offen lds              // 000000004AC8: E0511000 3C030005
	s_add_u32 m0, 0x880, m0                                    // 000000004AD0: 807C7CFF 00000880
	ds_read_b64 v[208:209], v13 offset:17664                   // 000000004AD8: D8EC4500 D000000D
	ds_read_b64 v[210:211], v13 offset:18688                   // 000000004AE0: D8EC4900 D200000D
	ds_read_b64 v[212:213], v13 offset:19712                   // 000000004AE8: D8EC4D00 D400000D
	ds_read_b64 v[214:215], v13 offset:20736                   // 000000004AF0: D8EC5100 D600000D
	buffer_load_dword v6, s[12:15], s60 offen lds              // 000000004AF8: E0511000 3C030006
	s_add_u32 m0, 0x880, m0                                    // 000000004B00: 807C7CFF 00000880
	ds_read_b64 v[216:217], v13 offset:17792                   // 000000004B08: D8EC4580 D800000D
	ds_read_b64 v[218:219], v13 offset:18816                   // 000000004B10: D8EC4980 DA00000D
	ds_read_b64 v[220:221], v13 offset:19840                   // 000000004B18: D8EC4D80 DC00000D
	ds_read_b64 v[222:223], v13 offset:20864                   // 000000004B20: D8EC5180 DE00000D
	buffer_load_dword v7, s[12:15], s60 offen lds              // 000000004B28: E0511000 3C030007
	s_add_u32 m0, 0x880, m0                                    // 000000004B30: 807C7CFF 00000880
	s_add_i32 s60, s43, s60                                    // 000000004B38: 813C3C2B
	s_add_u32 s40, 0x80, s39                                   // 000000004B3C: 802827FF 00000080
	s_cmp_lt_u32 s40, s38                                      // 000000004B44: BF0A2628
	s_cselect_b32 s43, s43, 0                                  // 000000004B48: 852B802B
	s_nop 0                                                    // 000000004B4C: BF800000
	s_cmp_lt_i32 s52, s54                                      // 000000004B50: BF043634
	s_cbranch_scc1 label_0659                                  // 000000004B54: BF850043
	s_sub_i32 s40, s7, s52                                     // 000000004B58: 81A83407
	v_sub_i32 v16, s40, v30                                    // 000000004B5C: D29D0010 00023C28
	v_cmp_lt_i32_e64 s[72:73], 0, v16                          // 000000004B64: D0C10048 00022080
	v_cmp_lt_i32_e64 s[74:75], 1, v16                          // 000000004B6C: D0C1004A 00022081
	v_cndmask_b32_e64 v64, v31, v64, s[72:73]                  // 000000004B74: D1000040 0122811F
	v_cndmask_b32_e64 v65, v31, v65, s[74:75]                  // 000000004B7C: D1000041 012A831F
	v_cmp_lt_i32_e64 s[72:73], 2, v16                          // 000000004B84: D0C10048 00022082
	v_cmp_lt_i32_e64 s[74:75], 3, v16                          // 000000004B8C: D0C1004A 00022083
	v_cndmask_b32_e64 v66, v31, v66, s[72:73]                  // 000000004B94: D1000042 0122851F
	v_cndmask_b32_e64 v67, v31, v67, s[74:75]                  // 000000004B9C: D1000043 012A871F
	v_cmp_lt_i32_e64 s[72:73], 8, v16                          // 000000004BA4: D0C10048 00022088
	v_cmp_lt_i32_e64 s[74:75], 9, v16                          // 000000004BAC: D0C1004A 00022089
	v_cndmask_b32_e64 v68, v31, v68, s[72:73]                  // 000000004BB4: D1000044 0122891F
	v_cndmask_b32_e64 v69, v31, v69, s[74:75]                  // 000000004BBC: D1000045 012A8B1F
	v_cmp_lt_i32_e64 s[72:73], 10, v16                         // 000000004BC4: D0C10048 0002208A
	v_cmp_lt_i32_e64 s[74:75], 11, v16                         // 000000004BCC: D0C1004A 0002208B
	v_cndmask_b32_e64 v70, v31, v70, s[72:73]                  // 000000004BD4: D1000046 01228D1F
	v_cndmask_b32_e64 v71, v31, v71, s[74:75]                  // 000000004BDC: D1000047 012A8F1F
	v_cmp_lt_i32_e64 s[72:73], 16, v16                         // 000000004BE4: D0C10048 00022090
	v_cmp_lt_i32_e64 s[74:75], 17, v16                         // 000000004BEC: D0C1004A 00022091
	v_cndmask_b32_e64 v72, v31, v72, s[72:73]                  // 000000004BF4: D1000048 0122911F
	v_cndmask_b32_e64 v73, v31, v73, s[74:75]                  // 000000004BFC: D1000049 012A931F
	v_cmp_lt_i32_e64 s[72:73], 18, v16                         // 000000004C04: D0C10048 00022092
	v_cmp_lt_i32_e64 s[74:75], 19, v16                         // 000000004C0C: D0C1004A 00022093
	v_cndmask_b32_e64 v74, v31, v74, s[72:73]                  // 000000004C14: D100004A 0122951F
	v_cndmask_b32_e64 v75, v31, v75, s[74:75]                  // 000000004C1C: D100004B 012A971F
	v_cmp_lt_i32_e64 s[72:73], 24, v16                         // 000000004C24: D0C10048 00022098
	v_cmp_lt_i32_e64 s[74:75], 25, v16                         // 000000004C2C: D0C1004A 00022099
	v_cndmask_b32_e64 v76, v31, v76, s[72:73]                  // 000000004C34: D100004C 0122991F
	v_cndmask_b32_e64 v77, v31, v77, s[74:75]                  // 000000004C3C: D100004D 012A9B1F
	v_cmp_lt_i32_e64 s[72:73], 26, v16                         // 000000004C44: D0C10048 0002209A
	v_cmp_lt_i32_e64 s[74:75], 27, v16                         // 000000004C4C: D0C1004A 0002209B
	v_cndmask_b32_e64 v78, v31, v78, s[72:73]                  // 000000004C54: D100004E 01229D1F
	v_cndmask_b32_e64 v79, v31, v79, s[74:75]                  // 000000004C5C: D100004F 012A9F1F

0000000000004c64 <label_0659>:
	s_nop 0                                                    // 000000004C64: BF800000
	s_waitcnt lgkmcnt(0)                                       // 000000004C68: BF8CC07F
	s_barrier                                                  // 000000004C6C: BF8A0000
	v_mfma_f32_32x32x8_bf16 v[96:111], v[192:193], v[80:81], v[96:111]// 000000004C70: D3E00060 0582A1C0
	v_max3_f32 v25, v64, v65, v28                              // 000000004C78: D1D30019 04728340
	v_max3_f32 v25, v66, v67, v25                              // 000000004C80: D1D30019 04668742
	v_max3_f32 v25, v68, v69, v25                              // 000000004C88: D1D30019 04668B44
	v_max3_f32 v25, v70, v71, v25                              // 000000004C90: D1D30019 04668F46
	v_max3_f32 v25, v72, v73, v25                              // 000000004C98: D1D30019 04669348
	v_max3_f32 v25, v74, v75, v25                              // 000000004CA0: D1D30019 0466974A
	v_max3_f32 v25, v76, v77, v25                              // 000000004CA8: D1D30019 04669B4C
	v_mfma_f32_32x32x8_bf16 v[96:111], v[194:195], v[82:83], v[96:111]// 000000004CB0: D3E00060 0582A5C2
	v_max3_f32 v25, v78, v79, v25                              // 000000004CB8: D1D30019 04669F4E
	ds_permute_b32 v24, v32, v25                               // 000000004CC0: D87C0000 18001920
	v_mfma_f32_32x32x8_bf16 v[96:111], v[196:197], v[84:85], v[96:111]// 000000004CC8: D3E00060 0582A9C4
	v_nop                                                      // 000000004CD0: 7E000000
	s_nop 0                                                    // 000000004CD4: BF800000
	v_mfma_f32_32x32x8_bf16 v[96:111], v[198:199], v[86:87], v[96:111]// 000000004CD8: D3E00060 0582ADC6
	v_nop                                                      // 000000004CE0: 7E000000
	v_mfma_f32_32x32x8_bf16 v[112:127], v[200:201], v[80:81], v[112:127]// 000000004CE4: D3E00070 05C2A1C8
	s_waitcnt lgkmcnt(0)                                       // 000000004CEC: BF8CC07F
	v_max_f32_e32 v25, v24, v25                                // 000000004CF0: 16323318
	v_sub_f32_e32 v20, v28, v25                                // 000000004CF4: 0428331C
	v_mov_b32_e32 v28, v25                                     // 000000004CF8: 7E380319
	v_mul_f32_e32 v27, s56, v25                                // 000000004CFC: 0A363238
	v_mul_f32_e32 v20, s56, v20                                // 000000004D00: 0A282838
	v_mfma_f32_32x32x8_bf16 v[112:127], v[202:203], v[82:83], v[112:127]// 000000004D04: D3E00070 05C2A5CA
	v_exp_f32_e32 v20, v20                                     // 000000004D0C: 7E284114
	v_fma_f32 v64, v64, s56, -v27                              // 000000004D10: D1CB0040 846C7140
	v_fma_f32 v65, v65, s56, -v27                              // 000000004D18: D1CB0041 846C7141
	v_fma_f32 v66, v66, s56, -v27                              // 000000004D20: D1CB0042 846C7142
	v_mfma_f32_32x32x8_bf16 v[112:127], v[204:205], v[84:85], v[112:127]// 000000004D28: D3E00070 05C2A9CC
	v_fma_f32 v67, v67, s56, -v27                              // 000000004D30: D1CB0043 846C7143
	v_fma_f32 v68, v68, s56, -v27                              // 000000004D38: D1CB0044 846C7144
	v_fma_f32 v69, v69, s56, -v27                              // 000000004D40: D1CB0045 846C7145
	v_fma_f32 v70, v70, s56, -v27                              // 000000004D48: D1CB0046 846C7146
	v_fma_f32 v71, v71, s56, -v27                              // 000000004D50: D1CB0047 846C7147
	v_fma_f32 v72, v72, s56, -v27                              // 000000004D58: D1CB0048 846C7148
	v_fma_f32 v73, v73, s56, -v27                              // 000000004D60: D1CB0049 846C7149
	v_mfma_f32_32x32x8_bf16 v[112:127], v[206:207], v[86:87], v[112:127]// 000000004D68: D3E00070 05C2ADCE
	v_fma_f32 v74, v74, s56, -v27                              // 000000004D70: D1CB004A 846C714A
	v_fma_f32 v75, v75, s56, -v27                              // 000000004D78: D1CB004B 846C714B
	v_fma_f32 v76, v76, s56, -v27                              // 000000004D80: D1CB004C 846C714C
	v_fma_f32 v77, v77, s56, -v27                              // 000000004D88: D1CB004D 846C714D
	v_fma_f32 v78, v78, s56, -v27                              // 000000004D90: D1CB004E 846C714E
	v_fma_f32 v79, v79, s56, -v27                              // 000000004D98: D1CB004F 846C714F
	v_exp_f32_e32 v64, v64                                     // 000000004DA0: 7E804140
	v_mfma_f32_32x32x8_bf16 v[128:143], v[208:209], v[80:81], v[128:143]// 000000004DA4: D3E00080 0602A1D0
	v_exp_f32_e32 v65, v65                                     // 000000004DAC: 7E824141
	v_exp_f32_e32 v66, v66                                     // 000000004DB0: 7E844142
	v_mfma_f32_32x32x8_bf16 v[128:143], v[210:211], v[82:83], v[128:143]// 000000004DB4: D3E00080 0602A5D2
	v_exp_f32_e32 v67, v67                                     // 000000004DBC: 7E864143
	v_exp_f32_e32 v68, v68                                     // 000000004DC0: 7E884144
	v_mfma_f32_32x32x8_bf16 v[128:143], v[212:213], v[84:85], v[128:143]// 000000004DC4: D3E00080 0602A9D4
	v_exp_f32_e32 v69, v69                                     // 000000004DCC: 7E8A4145
	v_exp_f32_e32 v70, v70                                     // 000000004DD0: 7E8C4146
	v_mfma_f32_32x32x8_bf16 v[128:143], v[214:215], v[86:87], v[128:143]// 000000004DD4: D3E00080 0602ADD6
	v_exp_f32_e32 v71, v71                                     // 000000004DDC: 7E8E4147
	v_exp_f32_e32 v72, v72                                     // 000000004DE0: 7E904148
	v_mfma_f32_32x32x8_bf16 v[144:159], v[216:217], v[80:81], v[144:159]// 000000004DE4: D3E00090 0642A1D8
	v_exp_f32_e32 v73, v73                                     // 000000004DEC: 7E924149
	v_exp_f32_e32 v74, v74                                     // 000000004DF0: 7E94414A
	v_mfma_f32_32x32x8_bf16 v[144:159], v[218:219], v[82:83], v[144:159]// 000000004DF4: D3E00090 0642A5DA
	v_exp_f32_e32 v75, v75                                     // 000000004DFC: 7E96414B
	v_exp_f32_e32 v76, v76                                     // 000000004E00: 7E98414C
	v_mfma_f32_32x32x8_bf16 v[144:159], v[220:221], v[84:85], v[144:159]// 000000004E04: D3E00090 0642A9DC
	v_exp_f32_e32 v77, v77                                     // 000000004E0C: 7E9A414D
	v_exp_f32_e32 v78, v78                                     // 000000004E10: 7E9C414E
	v_mfma_f32_32x32x8_bf16 v[144:159], v[222:223], v[86:87], v[144:159]// 000000004E14: D3E00090 0642ADDE
	s_nop 0                                                    // 000000004E1C: BF800000
	s_waitcnt vmcnt(8)                                         // 000000004E20: BF8C0F78
	s_barrier                                                  // 000000004E24: BF8A0000
	s_nop 11                                                   // 000000004E28: BF80000B
	s_nop 11                                                   // 000000004E2C: BF80000B
	ds_read_b128 v[192:195], v12 offset:8704                   // 000000004E30: D9FE2200 C000000C
	ds_read_b128 v[196:199], v12 offset:8736                   // 000000004E38: D9FE2220 C400000C
	ds_read_b128 v[200:203], v12 offset:8768                   // 000000004E40: D9FE2240 C800000C
	ds_read_b128 v[204:207], v12 offset:8800                   // 000000004E48: D9FE2260 CC00000C
	s_nop 15                                                   // 000000004E50: BF80000F
	s_nop 15                                                   // 000000004E54: BF80000F
	s_nop 10                                                   // 000000004E58: BF80000A
	buffer_load_dword v228, v8, s[16:19], s35 offen            // 000000004E5C: E0501000 2304E408
	ds_read_b128 v[208:211], v12 offset:8832                   // 000000004E64: D9FE2280 D000000C
	ds_read_b128 v[212:215], v12 offset:8864                   // 000000004E6C: D9FE22A0 D400000C
	buffer_load_dword v229, v9, s[16:19], s35 offen            // 000000004E74: E0501000 2304E509
	ds_read_b128 v[216:219], v12 offset:8896                   // 000000004E7C: D9FE22C0 D800000C
	ds_read_b128 v[220:223], v12 offset:8928                   // 000000004E84: D9FE22E0 DC00000C
	buffer_load_dword v230, v10, s[16:19], s35 offen           // 000000004E8C: E0501000 2304E60A
	buffer_load_dword v231, v11, s[16:19], s35 offen           // 000000004E94: E0501000 2304E70B
	s_add_i32 s35, s44, s35                                    // 000000004E9C: 8123232C
	s_add_u32 s40, 0x60, s39                                   // 000000004EA0: 802827FF 00000060
	s_nop 0                                                    // 000000004EA8: BF800000
	s_cmp_lt_u32 s40, s38                                      // 000000004EAC: BF0A2628
	s_cselect_b32 s44, s44, 0                                  // 000000004EB0: 852C802C
	s_add_i32 s52, s52, s53                                    // 000000004EB4: 81343534
	s_addk_i32 s39, 0x20                                       // 000000004EB8: B7270020
	s_cmp_lt_i32 s39, s38                                      // 000000004EBC: BF042627
	s_nop 0                                                    // 000000004EC0: BF800000
	s_cbranch_scc0 label_0A3E                                  // 000000004EC4: BF84034C
	s_branch label_03A1                                        // 000000004EC8: BF82FCAE

0000000000004ecc <label_06F3>:
	s_setprio 1                                                // 000000004ECC: BF8F0001
	s_barrier                                                  // 000000004ED0: BF8A0000

0000000000004ed4 <label_06F5>:
	buffer_load_dword v228, v8, s[16:19], s35 offen            // 000000004ED4: E0501000 2304E408
	ds_read_b128 v[192:195], v12 offset:8704                   // 000000004EDC: D9FE2200 C000000C
	ds_read_b128 v[196:199], v12 offset:8736                   // 000000004EE4: D9FE2220 C400000C
	buffer_load_dword v229, v9, s[16:19], s35 offen            // 000000004EEC: E0501000 2304E509
	ds_read_b128 v[200:203], v12 offset:8768                   // 000000004EF4: D9FE2240 C800000C
	ds_read_b128 v[204:207], v12 offset:8800                   // 000000004EFC: D9FE2260 CC00000C
	buffer_load_dword v230, v10, s[16:19], s35 offen           // 000000004F04: E0501000 2304E60A
	ds_read_b128 v[208:211], v12 offset:8832                   // 000000004F0C: D9FE2280 D000000C
	ds_read_b128 v[212:215], v12 offset:8864                   // 000000004F14: D9FE22A0 D400000C
	buffer_load_dword v231, v11, s[16:19], s35 offen           // 000000004F1C: E0501000 2304E70B
	ds_read_b128 v[216:219], v12 offset:8896                   // 000000004F24: D9FE22C0 D800000C
	ds_read_b128 v[220:223], v12 offset:8928                   // 000000004F2C: D9FE22E0 DC00000C
	s_add_i32 s35, s44, s35                                    // 000000004F34: 8123232C
	s_add_u32 s40, 64, s39                                     // 000000004F38: 802827C0
	s_nop 0                                                    // 000000004F3C: BF800000
	s_cmp_lt_u32 s40, s38                                      // 000000004F40: BF0A2628
	s_cselect_b32 s44, s44, 0                                  // 000000004F44: 852C802C
	s_waitcnt vmcnt(8) lgkmcnt(0)                              // 000000004F48: BF8C0078
	s_barrier                                                  // 000000004F4C: BF8A0000
	v_perm_b32 v232, v225, v224, s50                           // 000000004F50: D1ED00E8 00CBC1E1
	v_perm_b32 v234, v225, v224, s49                           // 000000004F58: D1ED00EA 00C7C1E1
	v_perm_b32 v233, v227, v226, s50                           // 000000004F60: D1ED00E9 00CBC5E3
	v_perm_b32 v235, v227, v226, s49                           // 000000004F68: D1ED00EB 00C7C5E3
	ds_write_b64 v14, v[232:233] offset:17408                  // 000000004F70: D89A4400 0000E80E
	ds_write_b64 v14, v[234:235] offset:21568                  // 000000004F78: D89A5440 0000EA0E
	s_nop 0                                                    // 000000004F80: BF800000
	s_barrier                                                  // 000000004F84: BF8A0000
	v_mfma_f32_32x32x8_bf16 v[80:95], v[192:193], v[160:161], 0// 000000004F88: D3E00050 020341C0
	v_exp_f32_e32 v79, v79                                     // 000000004F90: 7E9E414F
	v_mul_f32_e32 v22, v20, v22                                // 000000004F94: 0A2C2D14
	v_add_f32_e32 v38, v65, v64                                // 000000004F98: 024C8141
	v_add_f32_e32 v38, v66, v38                                // 000000004F9C: 024C4D42
	v_mfma_f32_32x32x8_bf16 v[80:95], v[194:195], v[162:163], v[80:95]// 000000004FA0: D3E00050 054345C2
	v_add_f32_e32 v38, v67, v38                                // 000000004FA8: 024C4D43
	v_add_f32_e32 v38, v68, v38                                // 000000004FAC: 024C4D44
	v_add_f32_e32 v38, v69, v38                                // 000000004FB0: 024C4D45
	v_add_f32_e32 v38, v70, v38                                // 000000004FB4: 024C4D46
	v_add_f32_e32 v38, v71, v38                                // 000000004FB8: 024C4D47
	v_add_f32_e32 v38, v72, v38                                // 000000004FBC: 024C4D48
	v_add_f32_e32 v38, v73, v38                                // 000000004FC0: 024C4D49
	v_mfma_f32_32x32x8_bf16 v[80:95], v[196:197], v[164:165], v[80:95]// 000000004FC4: D3E00050 054349C4
	v_add_f32_e32 v38, v74, v38                                // 000000004FCC: 024C4D4A
	v_add_f32_e32 v38, v75, v38                                // 000000004FD0: 024C4D4B
	v_add_f32_e32 v38, v76, v38                                // 000000004FD4: 024C4D4C
	v_add_f32_e32 v38, v77, v38                                // 000000004FD8: 024C4D4D
	v_add_f32_e32 v38, v78, v38                                // 000000004FDC: 024C4D4E
	v_add_f32_e32 v38, v79, v38                                // 000000004FE0: 024C4D4F
	v_add_f32_e32 v22, v38, v22                                // 000000004FE4: 022C2D26
	v_mfma_f32_32x32x8_bf16 v[80:95], v[198:199], v[166:167], v[80:95]// 000000004FE8: D3E00050 05434DC6
	s_waitcnt lgkmcnt(0)                                       // 000000004FF0: BF8CC07F
	s_barrier                                                  // 000000004FF4: BF8A0000
	v_mfma_f32_32x32x8_bf16 v[80:95], v[200:201], v[168:169], v[80:95]// 000000004FF8: D3E00050 054351C8
	v_mul_f32_e32 v96, v20, v96                                // 000000005000: 0AC0C114
	v_mul_f32_e32 v97, v20, v97                                // 000000005004: 0AC2C314
	v_mul_f32_e32 v98, v20, v98                                // 000000005008: 0AC4C514
	v_mul_f32_e32 v99, v20, v99                                // 00000000500C: 0AC6C714
	v_mul_f32_e32 v100, v20, v100                              // 000000005010: 0AC8C914
	v_mul_f32_e32 v101, v20, v101                              // 000000005014: 0ACACB14
	v_mul_f32_e32 v102, v20, v102                              // 000000005018: 0ACCCD14
	v_mfma_f32_32x32x8_bf16 v[80:95], v[202:203], v[170:171], v[80:95]// 00000000501C: D3E00050 054355CA
	v_mul_f32_e32 v103, v20, v103                              // 000000005024: 0ACECF14
	v_mul_f32_e32 v104, v20, v104                              // 000000005028: 0AD0D114
	v_mul_f32_e32 v105, v20, v105                              // 00000000502C: 0AD2D314
	v_mul_f32_e32 v106, v20, v106                              // 000000005030: 0AD4D514
	v_mul_f32_e32 v107, v20, v107                              // 000000005034: 0AD6D714
	v_mul_f32_e32 v108, v20, v108                              // 000000005038: 0AD8D914
	v_mul_f32_e32 v109, v20, v109                              // 00000000503C: 0ADADB14
	v_mfma_f32_32x32x8_bf16 v[80:95], v[204:205], v[172:173], v[80:95]// 000000005040: D3E00050 054359CC
	v_mul_f32_e32 v110, v20, v110                              // 000000005048: 0ADCDD14
	v_mul_f32_e32 v111, v20, v111                              // 00000000504C: 0ADEDF14
	v_mul_f32_e32 v112, v20, v112                              // 000000005050: 0AE0E114
	v_mul_f32_e32 v113, v20, v113                              // 000000005054: 0AE2E314
	v_mul_f32_e32 v114, v20, v114                              // 000000005058: 0AE4E514
	v_mul_f32_e32 v115, v20, v115                              // 00000000505C: 0AE6E714
	v_mul_f32_e32 v116, v20, v116                              // 000000005060: 0AE8E914
	v_mfma_f32_32x32x8_bf16 v[80:95], v[206:207], v[174:175], v[80:95]// 000000005064: D3E00050 05435DCE
	v_mul_f32_e32 v117, v20, v117                              // 00000000506C: 0AEAEB14
	v_mul_f32_e32 v118, v20, v118                              // 000000005070: 0AECED14
	v_mul_f32_e32 v119, v20, v119                              // 000000005074: 0AEEEF14
	v_mul_f32_e32 v120, v20, v120                              // 000000005078: 0AF0F114
	v_mul_f32_e32 v121, v20, v121                              // 00000000507C: 0AF2F314
	v_mul_f32_e32 v122, v20, v122                              // 000000005080: 0AF4F514
	v_mul_f32_e32 v123, v20, v123                              // 000000005084: 0AF6F714
	v_mfma_f32_32x32x8_bf16 v[80:95], v[208:209], v[176:177], v[80:95]// 000000005088: D3E00050 054361D0
	v_mul_f32_e32 v124, v20, v124                              // 000000005090: 0AF8F914
	v_mul_f32_e32 v125, v20, v125                              // 000000005094: 0AFAFB14
	v_mul_f32_e32 v126, v20, v126                              // 000000005098: 0AFCFD14
	v_mul_f32_e32 v127, v20, v127                              // 00000000509C: 0AFEFF14
	v_mul_f32_e32 v128, v20, v128                              // 0000000050A0: 0B010114
	v_mul_f32_e32 v129, v20, v129                              // 0000000050A4: 0B030314
	v_mul_f32_e32 v130, v20, v130                              // 0000000050A8: 0B050514
	v_mfma_f32_32x32x8_bf16 v[80:95], v[210:211], v[178:179], v[80:95]// 0000000050AC: D3E00050 054365D2
	v_mul_f32_e32 v131, v20, v131                              // 0000000050B4: 0B070714
	v_mul_f32_e32 v132, v20, v132                              // 0000000050B8: 0B090914
	v_mul_f32_e32 v133, v20, v133                              // 0000000050BC: 0B0B0B14
	v_mul_f32_e32 v134, v20, v134                              // 0000000050C0: 0B0D0D14
	v_mul_f32_e32 v135, v20, v135                              // 0000000050C4: 0B0F0F14
	v_mul_f32_e32 v136, v20, v136                              // 0000000050C8: 0B111114
	v_mul_f32_e32 v137, v20, v137                              // 0000000050CC: 0B131314
	v_mfma_f32_32x32x8_bf16 v[80:95], v[212:213], v[180:181], v[80:95]// 0000000050D0: D3E00050 054369D4
	v_mul_f32_e32 v138, v20, v138                              // 0000000050D8: 0B151514
	v_mul_f32_e32 v139, v20, v139                              // 0000000050DC: 0B171714
	v_mul_f32_e32 v140, v20, v140                              // 0000000050E0: 0B191914
	v_mul_f32_e32 v141, v20, v141                              // 0000000050E4: 0B1B1B14
	v_mul_f32_e32 v142, v20, v142                              // 0000000050E8: 0B1D1D14
	v_mul_f32_e32 v143, v20, v143                              // 0000000050EC: 0B1F1F14
	v_mul_f32_e32 v144, v20, v144                              // 0000000050F0: 0B212114
	v_mfma_f32_32x32x8_bf16 v[80:95], v[214:215], v[182:183], v[80:95]// 0000000050F4: D3E00050 05436DD6
	v_mul_f32_e32 v145, v20, v145                              // 0000000050FC: 0B232314
	v_mul_f32_e32 v146, v20, v146                              // 000000005100: 0B252514
	v_mul_f32_e32 v147, v20, v147                              // 000000005104: 0B272714
	v_mul_f32_e32 v148, v20, v148                              // 000000005108: 0B292914
	v_mul_f32_e32 v149, v20, v149                              // 00000000510C: 0B2B2B14
	v_mul_f32_e32 v150, v20, v150                              // 000000005110: 0B2D2D14
	v_mul_f32_e32 v151, v20, v151                              // 000000005114: 0B2F2F14
	v_mfma_f32_32x32x8_bf16 v[80:95], v[216:217], v[184:185], v[80:95]// 000000005118: D3E00050 054371D8
	v_mul_f32_e32 v152, v20, v152                              // 000000005120: 0B313114
	v_mul_f32_e32 v153, v20, v153                              // 000000005124: 0B333314
	v_mul_f32_e32 v154, v20, v154                              // 000000005128: 0B353514
	v_mul_f32_e32 v155, v20, v155                              // 00000000512C: 0B373714
	v_mul_f32_e32 v156, v20, v156                              // 000000005130: 0B393914
	v_mul_f32_e32 v157, v20, v157                              // 000000005134: 0B3B3B14
	v_mul_f32_e32 v158, v20, v158                              // 000000005138: 0B3D3D14
	v_mfma_f32_32x32x8_bf16 v[80:95], v[218:219], v[186:187], v[80:95]// 00000000513C: D3E00050 054375DA
	v_mul_f32_e32 v159, v20, v159                              // 000000005144: 0B3F3F14
	v_perm_b32 v64, v65, v64, s49                              // 000000005148: D1ED0040 00C68141
	v_perm_b32 v65, v67, v66, s49                              // 000000005150: D1ED0041 00C68543
	v_perm_b32 v66, v69, v68, s49                              // 000000005158: D1ED0042 00C68945
	v_perm_b32 v67, v71, v70, s49                              // 000000005160: D1ED0043 00C68D47
	v_perm_b32 v68, v73, v72, s49                              // 000000005168: D1ED0044 00C69149
	v_perm_b32 v69, v75, v74, s49                              // 000000005170: D1ED0045 00C6954B
	v_mfma_f32_32x32x8_bf16 v[80:95], v[220:221], v[188:189], v[80:95]// 000000005178: D3E00050 054379DC
	v_perm_b32 v70, v77, v76, s49                              // 000000005180: D1ED0046 00C6994D
	v_perm_b32 v71, v79, v78, s49                              // 000000005188: D1ED0047 00C69D4F
	v_mfma_f32_32x32x8_bf16 v[80:95], v[222:223], v[190:191], v[80:95]// 000000005190: D3E00050 05437DDE
	s_barrier                                                  // 000000005198: BF8A0000
	s_cmp_lt_i32 s52, s54                                      // 00000000519C: BF043634
	s_cbranch_scc1 label_07EC                                  // 0000000051A0: BF850043
	s_sub_i32 s40, s7, s52                                     // 0000000051A4: 81A83407
	v_sub_i32 v16, s40, v30                                    // 0000000051A8: D29D0010 00023C28
	v_cmp_lt_i32_e64 s[72:73], 0, v16                          // 0000000051B0: D0C10048 00022080
	v_cmp_lt_i32_e64 s[74:75], 1, v16                          // 0000000051B8: D0C1004A 00022081
	v_cndmask_b32_e64 v80, v31, v80, s[72:73]                  // 0000000051C0: D1000050 0122A11F
	v_cndmask_b32_e64 v81, v31, v81, s[74:75]                  // 0000000051C8: D1000051 012AA31F
	v_cmp_lt_i32_e64 s[72:73], 2, v16                          // 0000000051D0: D0C10048 00022082
	v_cmp_lt_i32_e64 s[74:75], 3, v16                          // 0000000051D8: D0C1004A 00022083
	v_cndmask_b32_e64 v82, v31, v82, s[72:73]                  // 0000000051E0: D1000052 0122A51F
	v_cndmask_b32_e64 v83, v31, v83, s[74:75]                  // 0000000051E8: D1000053 012AA71F
	v_cmp_lt_i32_e64 s[72:73], 8, v16                          // 0000000051F0: D0C10048 00022088
	v_cmp_lt_i32_e64 s[74:75], 9, v16                          // 0000000051F8: D0C1004A 00022089
	v_cndmask_b32_e64 v84, v31, v84, s[72:73]                  // 000000005200: D1000054 0122A91F
	v_cndmask_b32_e64 v85, v31, v85, s[74:75]                  // 000000005208: D1000055 012AAB1F
	v_cmp_lt_i32_e64 s[72:73], 10, v16                         // 000000005210: D0C10048 0002208A
	v_cmp_lt_i32_e64 s[74:75], 11, v16                         // 000000005218: D0C1004A 0002208B
	v_cndmask_b32_e64 v86, v31, v86, s[72:73]                  // 000000005220: D1000056 0122AD1F
	v_cndmask_b32_e64 v87, v31, v87, s[74:75]                  // 000000005228: D1000057 012AAF1F
	v_cmp_lt_i32_e64 s[72:73], 16, v16                         // 000000005230: D0C10048 00022090
	v_cmp_lt_i32_e64 s[74:75], 17, v16                         // 000000005238: D0C1004A 00022091
	v_cndmask_b32_e64 v88, v31, v88, s[72:73]                  // 000000005240: D1000058 0122B11F
	v_cndmask_b32_e64 v89, v31, v89, s[74:75]                  // 000000005248: D1000059 012AB31F
	v_cmp_lt_i32_e64 s[72:73], 18, v16                         // 000000005250: D0C10048 00022092
	v_cmp_lt_i32_e64 s[74:75], 19, v16                         // 000000005258: D0C1004A 00022093
	v_cndmask_b32_e64 v90, v31, v90, s[72:73]                  // 000000005260: D100005A 0122B51F
	v_cndmask_b32_e64 v91, v31, v91, s[74:75]                  // 000000005268: D100005B 012AB71F
	v_cmp_lt_i32_e64 s[72:73], 24, v16                         // 000000005270: D0C10048 00022098
	v_cmp_lt_i32_e64 s[74:75], 25, v16                         // 000000005278: D0C1004A 00022099
	v_cndmask_b32_e64 v92, v31, v92, s[72:73]                  // 000000005280: D100005C 0122B91F
	v_cndmask_b32_e64 v93, v31, v93, s[74:75]                  // 000000005288: D100005D 012ABB1F
	v_cmp_lt_i32_e64 s[72:73], 26, v16                         // 000000005290: D0C10048 0002209A
	v_cmp_lt_i32_e64 s[74:75], 27, v16                         // 000000005298: D0C1004A 0002209B
	v_cndmask_b32_e64 v94, v31, v94, s[72:73]                  // 0000000052A0: D100005E 0122BD1F
	v_cndmask_b32_e64 v95, v31, v95, s[74:75]                  // 0000000052A8: D100005F 012ABF1F

00000000000052b0 <label_07EC>:
	s_nop 0                                                    // 0000000052B0: BF800000
	s_nop 0                                                    // 0000000052B4: BF800000
	s_nop 14                                                   // 0000000052B8: BF80000E
	s_mov_b32 m0, s69                                          // 0000000052BC: BEFC0045
	ds_read_b64 v[192:193], v13 offset:17408                   // 0000000052C0: D8EC4400 C000000D
	ds_read_b64 v[194:195], v13 offset:18432                   // 0000000052C8: D8EC4800 C200000D
	ds_read_b64 v[196:197], v13 offset:19456                   // 0000000052D0: D8EC4C00 C400000D
	ds_read_b64 v[198:199], v13 offset:20480                   // 0000000052D8: D8EC5000 C600000D
	ds_read_b64 v[200:201], v13 offset:17536                   // 0000000052E0: D8EC4480 C800000D
	ds_read_b64 v[202:203], v13 offset:18560                   // 0000000052E8: D8EC4880 CA00000D
	ds_read_b64 v[204:205], v13 offset:19584                   // 0000000052F0: D8EC4C80 CC00000D
	ds_read_b64 v[206:207], v13 offset:20608                   // 0000000052F8: D8EC5080 CE00000D
	s_nop 15                                                   // 000000005300: BF80000F
	s_nop 15                                                   // 000000005304: BF80000F
	buffer_load_dword v4, s[12:15], s60 offen lds              // 000000005308: E0511000 3C030004
	s_add_u32 m0, 0x880, m0                                    // 000000005310: 807C7CFF 00000880
	ds_read_b64 v[208:209], v13 offset:17664                   // 000000005318: D8EC4500 D000000D
	ds_read_b64 v[210:211], v13 offset:18688                   // 000000005320: D8EC4900 D200000D
	ds_read_b64 v[212:213], v13 offset:19712                   // 000000005328: D8EC4D00 D400000D
	ds_read_b64 v[214:215], v13 offset:20736                   // 000000005330: D8EC5100 D600000D
	buffer_load_dword v5, s[12:15], s60 offen lds              // 000000005338: E0511000 3C030005
	s_add_u32 m0, 0x880, m0                                    // 000000005340: 807C7CFF 00000880
	ds_read_b64 v[216:217], v13 offset:17792                   // 000000005348: D8EC4580 D800000D
	ds_read_b64 v[218:219], v13 offset:18816                   // 000000005350: D8EC4980 DA00000D
	ds_read_b64 v[220:221], v13 offset:19840                   // 000000005358: D8EC4D80 DC00000D
	ds_read_b64 v[222:223], v13 offset:20864                   // 000000005360: D8EC5180 DE00000D
	buffer_load_dword v6, s[12:15], s60 offen lds              // 000000005368: E0511000 3C030006
	s_add_u32 m0, 0x880, m0                                    // 000000005370: 807C7CFF 00000880
	buffer_load_dword v7, s[12:15], s60 offen lds              // 000000005378: E0511000 3C030007
	s_add_u32 m0, 0x880, m0                                    // 000000005380: 807C7CFF 00000880
	s_add_i32 s60, s43, s60                                    // 000000005388: 813C3C2B
	s_add_u32 s40, 0x80, s39                                   // 00000000538C: 802827FF 00000080
	s_cmp_lt_u32 s40, s38                                      // 000000005394: BF0A2628
	s_cselect_b32 s43, s43, 0                                  // 000000005398: 852B802B
	s_add_i32 s52, s52, s53                                    // 00000000539C: 81343534
	s_addk_i32 s39, 0x20                                       // 0000000053A0: B7270020
	s_cmp_lt_i32 s39, s38                                      // 0000000053A4: BF042627
	s_waitcnt vmcnt(8) lgkmcnt(0)                              // 0000000053A8: BF8C0078
	s_barrier                                                  // 0000000053AC: BF8A0000
	v_mfma_f32_32x32x8_bf16 v[96:111], v[192:193], v[64:65], v[96:111]// 0000000053B0: D3E00060 058281C0
	v_max3_f32 v25, v80, v81, v28                              // 0000000053B8: D1D30019 0472A350
	v_max3_f32 v25, v82, v83, v25                              // 0000000053C0: D1D30019 0466A752
	v_max3_f32 v25, v84, v85, v25                              // 0000000053C8: D1D30019 0466AB54
	v_max3_f32 v25, v86, v87, v25                              // 0000000053D0: D1D30019 0466AF56
	v_max3_f32 v25, v88, v89, v25                              // 0000000053D8: D1D30019 0466B358
	v_max3_f32 v25, v90, v91, v25                              // 0000000053E0: D1D30019 0466B75A
	v_max3_f32 v25, v92, v93, v25                              // 0000000053E8: D1D30019 0466BB5C
	v_mfma_f32_32x32x8_bf16 v[96:111], v[194:195], v[66:67], v[96:111]// 0000000053F0: D3E00060 058285C2
	v_max3_f32 v25, v94, v95, v25                              // 0000000053F8: D1D30019 0466BF5E
	ds_permute_b32 v24, v32, v25                               // 000000005400: D87C0000 18001920
	v_mfma_f32_32x32x8_bf16 v[96:111], v[196:197], v[68:69], v[96:111]// 000000005408: D3E00060 058289C4
	v_nop                                                      // 000000005410: 7E000000
	s_nop 0                                                    // 000000005414: BF800000
	v_mfma_f32_32x32x8_bf16 v[96:111], v[198:199], v[70:71], v[96:111]// 000000005418: D3E00060 05828DC6
	v_nop                                                      // 000000005420: 7E000000
	v_mfma_f32_32x32x8_bf16 v[112:127], v[200:201], v[64:65], v[112:127]// 000000005424: D3E00070 05C281C8
	s_waitcnt lgkmcnt(0)                                       // 00000000542C: BF8CC07F
	v_max_f32_e32 v25, v24, v25                                // 000000005430: 16323318
	v_sub_f32_e32 v20, v28, v25                                // 000000005434: 0428331C
	v_mov_b32_e32 v28, v25                                     // 000000005438: 7E380319
	v_mul_f32_e32 v27, s56, v25                                // 00000000543C: 0A363238
	v_mul_f32_e32 v20, s56, v20                                // 000000005440: 0A282838
	v_mfma_f32_32x32x8_bf16 v[112:127], v[202:203], v[66:67], v[112:127]// 000000005444: D3E00070 05C285CA
	v_exp_f32_e32 v20, v20                                     // 00000000544C: 7E284114
	v_fma_f32 v80, v80, s56, -v27                              // 000000005450: D1CB0050 846C7150
	v_fma_f32 v81, v81, s56, -v27                              // 000000005458: D1CB0051 846C7151
	v_fma_f32 v82, v82, s56, -v27                              // 000000005460: D1CB0052 846C7152
	v_mfma_f32_32x32x8_bf16 v[112:127], v[204:205], v[68:69], v[112:127]// 000000005468: D3E00070 05C289CC
	v_fma_f32 v83, v83, s56, -v27                              // 000000005470: D1CB0053 846C7153
	v_fma_f32 v84, v84, s56, -v27                              // 000000005478: D1CB0054 846C7154
	v_fma_f32 v85, v85, s56, -v27                              // 000000005480: D1CB0055 846C7155
	v_fma_f32 v86, v86, s56, -v27                              // 000000005488: D1CB0056 846C7156
	v_fma_f32 v87, v87, s56, -v27                              // 000000005490: D1CB0057 846C7157
	v_fma_f32 v88, v88, s56, -v27                              // 000000005498: D1CB0058 846C7158
	v_fma_f32 v89, v89, s56, -v27                              // 0000000054A0: D1CB0059 846C7159
	v_mfma_f32_32x32x8_bf16 v[112:127], v[206:207], v[70:71], v[112:127]// 0000000054A8: D3E00070 05C28DCE
	v_fma_f32 v90, v90, s56, -v27                              // 0000000054B0: D1CB005A 846C715A
	v_fma_f32 v91, v91, s56, -v27                              // 0000000054B8: D1CB005B 846C715B
	v_fma_f32 v92, v92, s56, -v27                              // 0000000054C0: D1CB005C 846C715C
	v_fma_f32 v93, v93, s56, -v27                              // 0000000054C8: D1CB005D 846C715D
	v_fma_f32 v94, v94, s56, -v27                              // 0000000054D0: D1CB005E 846C715E
	v_fma_f32 v95, v95, s56, -v27                              // 0000000054D8: D1CB005F 846C715F
	v_exp_f32_e32 v80, v80                                     // 0000000054E0: 7EA04150
	v_mfma_f32_32x32x8_bf16 v[128:143], v[208:209], v[64:65], v[128:143]// 0000000054E4: D3E00080 060281D0
	v_exp_f32_e32 v81, v81                                     // 0000000054EC: 7EA24151
	v_exp_f32_e32 v82, v82                                     // 0000000054F0: 7EA44152
	v_mfma_f32_32x32x8_bf16 v[128:143], v[210:211], v[66:67], v[128:143]// 0000000054F4: D3E00080 060285D2
	v_exp_f32_e32 v83, v83                                     // 0000000054FC: 7EA64153
	v_exp_f32_e32 v84, v84                                     // 000000005500: 7EA84154
	v_mfma_f32_32x32x8_bf16 v[128:143], v[212:213], v[68:69], v[128:143]// 000000005504: D3E00080 060289D4
	v_exp_f32_e32 v85, v85                                     // 00000000550C: 7EAA4155
	v_exp_f32_e32 v86, v86                                     // 000000005510: 7EAC4156
	v_mfma_f32_32x32x8_bf16 v[128:143], v[214:215], v[70:71], v[128:143]// 000000005514: D3E00080 06028DD6
	v_exp_f32_e32 v87, v87                                     // 00000000551C: 7EAE4157
	v_exp_f32_e32 v88, v88                                     // 000000005520: 7EB04158
	v_mfma_f32_32x32x8_bf16 v[144:159], v[216:217], v[64:65], v[144:159]// 000000005524: D3E00090 064281D8
	v_exp_f32_e32 v89, v89                                     // 00000000552C: 7EB24159
	v_exp_f32_e32 v90, v90                                     // 000000005530: 7EB4415A
	v_mfma_f32_32x32x8_bf16 v[144:159], v[218:219], v[66:67], v[144:159]// 000000005534: D3E00090 064285DA
	v_exp_f32_e32 v91, v91                                     // 00000000553C: 7EB6415B
	v_exp_f32_e32 v92, v92                                     // 000000005540: 7EB8415C
	v_mfma_f32_32x32x8_bf16 v[144:159], v[220:221], v[68:69], v[144:159]// 000000005544: D3E00090 064289DC
	v_exp_f32_e32 v93, v93                                     // 00000000554C: 7EBA415D
	v_exp_f32_e32 v94, v94                                     // 000000005550: 7EBC415E
	v_mfma_f32_32x32x8_bf16 v[144:159], v[222:223], v[70:71], v[144:159]// 000000005554: D3E00090 06428DDE
	v_nop                                                      // 00000000555C: 7E000000
	s_cbranch_scc0 label_0A3E                                  // 000000005560: BF8401A5
	buffer_load_dword v224, v8, s[16:19], s35 offen            // 000000005564: E0501000 2304E008
	ds_read_b128 v[192:195], v12                               // 00000000556C: D9FE0000 C000000C
	ds_read_b128 v[196:199], v12 offset:32                     // 000000005574: D9FE0020 C400000C
	buffer_load_dword v225, v9, s[16:19], s35 offen            // 00000000557C: E0501000 2304E109
	ds_read_b128 v[200:203], v12 offset:64                     // 000000005584: D9FE0040 C800000C
	ds_read_b128 v[204:207], v12 offset:96                     // 00000000558C: D9FE0060 CC00000C
	buffer_load_dword v226, v10, s[16:19], s35 offen           // 000000005594: E0501000 2304E20A
	ds_read_b128 v[208:211], v12 offset:128                    // 00000000559C: D9FE0080 D000000C
	ds_read_b128 v[212:215], v12 offset:160                    // 0000000055A4: D9FE00A0 D400000C
	buffer_load_dword v227, v11, s[16:19], s35 offen           // 0000000055AC: E0501000 2304E30B
	ds_read_b128 v[216:219], v12 offset:192                    // 0000000055B4: D9FE00C0 D800000C
	ds_read_b128 v[220:223], v12 offset:224                    // 0000000055BC: D9FE00E0 DC00000C
	s_add_i32 s35, s44, s35                                    // 0000000055C4: 8123232C
	s_add_u32 s40, 64, s39                                     // 0000000055C8: 802827C0
	s_nop 0                                                    // 0000000055CC: BF800000
	s_cmp_lt_u32 s40, s38                                      // 0000000055D0: BF0A2628
	s_cselect_b32 s44, s44, 0                                  // 0000000055D4: 852C802C
	s_waitcnt vmcnt(8) lgkmcnt(0)                              // 0000000055D8: BF8C0078
	s_barrier                                                  // 0000000055DC: BF8A0000
	v_perm_b32 v232, v229, v228, s50                           // 0000000055E0: D1ED00E8 00CBC9E5
	v_perm_b32 v234, v229, v228, s49                           // 0000000055E8: D1ED00EA 00C7C9E5
	v_perm_b32 v233, v231, v230, s50                           // 0000000055F0: D1ED00E9 00CBCDE7
	v_perm_b32 v235, v231, v230, s49                           // 0000000055F8: D1ED00EB 00C7CDE7
	ds_write_b64 v14, v[232:233] offset:17408                  // 000000005600: D89A4400 0000E80E
	ds_write_b64 v14, v[234:235] offset:21568                  // 000000005608: D89A5440 0000EA0E
	s_nop 0                                                    // 000000005610: BF800000
	s_barrier                                                  // 000000005614: BF8A0000
	v_mfma_f32_32x32x8_bf16 v[64:79], v[192:193], v[160:161], 0// 000000005618: D3E00040 020341C0
	v_exp_f32_e32 v95, v95                                     // 000000005620: 7EBE415F
	v_mul_f32_e32 v22, v20, v22                                // 000000005624: 0A2C2D14
	v_add_f32_e32 v38, v81, v80                                // 000000005628: 024CA151
	v_add_f32_e32 v38, v82, v38                                // 00000000562C: 024C4D52
	v_mfma_f32_32x32x8_bf16 v[64:79], v[194:195], v[162:163], v[64:79]// 000000005630: D3E00040 050345C2
	v_add_f32_e32 v38, v83, v38                                // 000000005638: 024C4D53
	v_add_f32_e32 v38, v84, v38                                // 00000000563C: 024C4D54
	v_add_f32_e32 v38, v85, v38                                // 000000005640: 024C4D55
	v_add_f32_e32 v38, v86, v38                                // 000000005644: 024C4D56
	v_add_f32_e32 v38, v87, v38                                // 000000005648: 024C4D57
	v_add_f32_e32 v38, v88, v38                                // 00000000564C: 024C4D58
	v_add_f32_e32 v38, v89, v38                                // 000000005650: 024C4D59
	v_mfma_f32_32x32x8_bf16 v[64:79], v[196:197], v[164:165], v[64:79]// 000000005654: D3E00040 050349C4
	v_add_f32_e32 v38, v90, v38                                // 00000000565C: 024C4D5A
	v_add_f32_e32 v38, v91, v38                                // 000000005660: 024C4D5B
	v_add_f32_e32 v38, v92, v38                                // 000000005664: 024C4D5C
	v_add_f32_e32 v38, v93, v38                                // 000000005668: 024C4D5D
	v_add_f32_e32 v38, v94, v38                                // 00000000566C: 024C4D5E
	v_add_f32_e32 v38, v95, v38                                // 000000005670: 024C4D5F
	v_add_f32_e32 v22, v38, v22                                // 000000005674: 022C2D26
	v_mfma_f32_32x32x8_bf16 v[64:79], v[198:199], v[166:167], v[64:79]// 000000005678: D3E00040 05034DC6
	s_waitcnt lgkmcnt(0)                                       // 000000005680: BF8CC07F
	s_barrier                                                  // 000000005684: BF8A0000
	v_mfma_f32_32x32x8_bf16 v[64:79], v[200:201], v[168:169], v[64:79]// 000000005688: D3E00040 050351C8
	v_mul_f32_e32 v96, v20, v96                                // 000000005690: 0AC0C114
	v_mul_f32_e32 v97, v20, v97                                // 000000005694: 0AC2C314
	v_mul_f32_e32 v98, v20, v98                                // 000000005698: 0AC4C514
	v_mul_f32_e32 v99, v20, v99                                // 00000000569C: 0AC6C714
	v_mul_f32_e32 v100, v20, v100                              // 0000000056A0: 0AC8C914
	v_mul_f32_e32 v101, v20, v101                              // 0000000056A4: 0ACACB14
	v_mul_f32_e32 v102, v20, v102                              // 0000000056A8: 0ACCCD14
	v_mfma_f32_32x32x8_bf16 v[64:79], v[202:203], v[170:171], v[64:79]// 0000000056AC: D3E00040 050355CA
	v_mul_f32_e32 v103, v20, v103                              // 0000000056B4: 0ACECF14
	v_mul_f32_e32 v104, v20, v104                              // 0000000056B8: 0AD0D114
	v_mul_f32_e32 v105, v20, v105                              // 0000000056BC: 0AD2D314
	v_mul_f32_e32 v106, v20, v106                              // 0000000056C0: 0AD4D514
	v_mul_f32_e32 v107, v20, v107                              // 0000000056C4: 0AD6D714
	v_mul_f32_e32 v108, v20, v108                              // 0000000056C8: 0AD8D914
	v_mul_f32_e32 v109, v20, v109                              // 0000000056CC: 0ADADB14
	v_mfma_f32_32x32x8_bf16 v[64:79], v[204:205], v[172:173], v[64:79]// 0000000056D0: D3E00040 050359CC
	v_mul_f32_e32 v110, v20, v110                              // 0000000056D8: 0ADCDD14
	v_mul_f32_e32 v111, v20, v111                              // 0000000056DC: 0ADEDF14
	v_mul_f32_e32 v112, v20, v112                              // 0000000056E0: 0AE0E114
	v_mul_f32_e32 v113, v20, v113                              // 0000000056E4: 0AE2E314
	v_mul_f32_e32 v114, v20, v114                              // 0000000056E8: 0AE4E514
	v_mul_f32_e32 v115, v20, v115                              // 0000000056EC: 0AE6E714
	v_mul_f32_e32 v116, v20, v116                              // 0000000056F0: 0AE8E914
	v_mfma_f32_32x32x8_bf16 v[64:79], v[206:207], v[174:175], v[64:79]// 0000000056F4: D3E00040 05035DCE
	v_mul_f32_e32 v117, v20, v117                              // 0000000056FC: 0AEAEB14
	v_mul_f32_e32 v118, v20, v118                              // 000000005700: 0AECED14
	v_mul_f32_e32 v119, v20, v119                              // 000000005704: 0AEEEF14
	v_mul_f32_e32 v120, v20, v120                              // 000000005708: 0AF0F114
	v_mul_f32_e32 v121, v20, v121                              // 00000000570C: 0AF2F314
	v_mul_f32_e32 v122, v20, v122                              // 000000005710: 0AF4F514
	v_mul_f32_e32 v123, v20, v123                              // 000000005714: 0AF6F714
	v_mfma_f32_32x32x8_bf16 v[64:79], v[208:209], v[176:177], v[64:79]// 000000005718: D3E00040 050361D0
	v_mul_f32_e32 v124, v20, v124                              // 000000005720: 0AF8F914
	v_mul_f32_e32 v125, v20, v125                              // 000000005724: 0AFAFB14
	v_mul_f32_e32 v126, v20, v126                              // 000000005728: 0AFCFD14
	v_mul_f32_e32 v127, v20, v127                              // 00000000572C: 0AFEFF14
	v_mul_f32_e32 v128, v20, v128                              // 000000005730: 0B010114
	v_mul_f32_e32 v129, v20, v129                              // 000000005734: 0B030314
	v_mul_f32_e32 v130, v20, v130                              // 000000005738: 0B050514
	v_mfma_f32_32x32x8_bf16 v[64:79], v[210:211], v[178:179], v[64:79]// 00000000573C: D3E00040 050365D2
	v_mul_f32_e32 v131, v20, v131                              // 000000005744: 0B070714
	v_mul_f32_e32 v132, v20, v132                              // 000000005748: 0B090914
	v_mul_f32_e32 v133, v20, v133                              // 00000000574C: 0B0B0B14
	v_mul_f32_e32 v134, v20, v134                              // 000000005750: 0B0D0D14
	v_mul_f32_e32 v135, v20, v135                              // 000000005754: 0B0F0F14
	v_mul_f32_e32 v136, v20, v136                              // 000000005758: 0B111114
	v_mul_f32_e32 v137, v20, v137                              // 00000000575C: 0B131314
	v_mfma_f32_32x32x8_bf16 v[64:79], v[212:213], v[180:181], v[64:79]// 000000005760: D3E00040 050369D4
	v_mul_f32_e32 v138, v20, v138                              // 000000005768: 0B151514
	v_mul_f32_e32 v139, v20, v139                              // 00000000576C: 0B171714
	v_mul_f32_e32 v140, v20, v140                              // 000000005770: 0B191914
	v_mul_f32_e32 v141, v20, v141                              // 000000005774: 0B1B1B14
	v_mul_f32_e32 v142, v20, v142                              // 000000005778: 0B1D1D14
	v_mul_f32_e32 v143, v20, v143                              // 00000000577C: 0B1F1F14
	v_mul_f32_e32 v144, v20, v144                              // 000000005780: 0B212114
	v_mfma_f32_32x32x8_bf16 v[64:79], v[214:215], v[182:183], v[64:79]// 000000005784: D3E00040 05036DD6
	v_mul_f32_e32 v145, v20, v145                              // 00000000578C: 0B232314
	v_mul_f32_e32 v146, v20, v146                              // 000000005790: 0B252514
	v_mul_f32_e32 v147, v20, v147                              // 000000005794: 0B272714
	v_mul_f32_e32 v148, v20, v148                              // 000000005798: 0B292914
	v_mul_f32_e32 v149, v20, v149                              // 00000000579C: 0B2B2B14
	v_mul_f32_e32 v150, v20, v150                              // 0000000057A0: 0B2D2D14
	v_mul_f32_e32 v151, v20, v151                              // 0000000057A4: 0B2F2F14
	v_mfma_f32_32x32x8_bf16 v[64:79], v[216:217], v[184:185], v[64:79]// 0000000057A8: D3E00040 050371D8
	v_mul_f32_e32 v152, v20, v152                              // 0000000057B0: 0B313114
	v_mul_f32_e32 v153, v20, v153                              // 0000000057B4: 0B333314
	v_mul_f32_e32 v154, v20, v154                              // 0000000057B8: 0B353514
	v_mul_f32_e32 v155, v20, v155                              // 0000000057BC: 0B373714
	v_mul_f32_e32 v156, v20, v156                              // 0000000057C0: 0B393914
	v_mul_f32_e32 v157, v20, v157                              // 0000000057C4: 0B3B3B14
	v_mul_f32_e32 v158, v20, v158                              // 0000000057C8: 0B3D3D14
	v_mfma_f32_32x32x8_bf16 v[64:79], v[218:219], v[186:187], v[64:79]// 0000000057CC: D3E00040 050375DA
	v_mul_f32_e32 v159, v20, v159                              // 0000000057D4: 0B3F3F14
	v_perm_b32 v80, v81, v80, s49                              // 0000000057D8: D1ED0050 00C6A151
	v_perm_b32 v81, v83, v82, s49                              // 0000000057E0: D1ED0051 00C6A553
	v_perm_b32 v82, v85, v84, s49                              // 0000000057E8: D1ED0052 00C6A955
	v_perm_b32 v83, v87, v86, s49                              // 0000000057F0: D1ED0053 00C6AD57
	v_perm_b32 v84, v89, v88, s49                              // 0000000057F8: D1ED0054 00C6B159
	v_perm_b32 v85, v91, v90, s49                              // 000000005800: D1ED0055 00C6B55B
	v_mfma_f32_32x32x8_bf16 v[64:79], v[220:221], v[188:189], v[64:79]// 000000005808: D3E00040 050379DC
	v_perm_b32 v86, v93, v92, s49                              // 000000005810: D1ED0056 00C6B95D
	v_perm_b32 v87, v95, v94, s49                              // 000000005818: D1ED0057 00C6BD5F
	v_mfma_f32_32x32x8_bf16 v[64:79], v[222:223], v[190:191], v[64:79]// 000000005820: D3E00040 05037DDE
	s_barrier                                                  // 000000005828: BF8A0000
	s_cmp_lt_i32 s52, s54                                      // 00000000582C: BF043634
	s_cbranch_scc1 label_0990                                  // 000000005830: BF850043
	s_sub_i32 s40, s7, s52                                     // 000000005834: 81A83407
	v_sub_i32 v16, s40, v30                                    // 000000005838: D29D0010 00023C28
	v_cmp_lt_i32_e64 s[72:73], 0, v16                          // 000000005840: D0C10048 00022080
	v_cmp_lt_i32_e64 s[74:75], 1, v16                          // 000000005848: D0C1004A 00022081
	v_cndmask_b32_e64 v64, v31, v64, s[72:73]                  // 000000005850: D1000040 0122811F
	v_cndmask_b32_e64 v65, v31, v65, s[74:75]                  // 000000005858: D1000041 012A831F
	v_cmp_lt_i32_e64 s[72:73], 2, v16                          // 000000005860: D0C10048 00022082
	v_cmp_lt_i32_e64 s[74:75], 3, v16                          // 000000005868: D0C1004A 00022083
	v_cndmask_b32_e64 v66, v31, v66, s[72:73]                  // 000000005870: D1000042 0122851F
	v_cndmask_b32_e64 v67, v31, v67, s[74:75]                  // 000000005878: D1000043 012A871F
	v_cmp_lt_i32_e64 s[72:73], 8, v16                          // 000000005880: D0C10048 00022088
	v_cmp_lt_i32_e64 s[74:75], 9, v16                          // 000000005888: D0C1004A 00022089
	v_cndmask_b32_e64 v68, v31, v68, s[72:73]                  // 000000005890: D1000044 0122891F
	v_cndmask_b32_e64 v69, v31, v69, s[74:75]                  // 000000005898: D1000045 012A8B1F
	v_cmp_lt_i32_e64 s[72:73], 10, v16                         // 0000000058A0: D0C10048 0002208A
	v_cmp_lt_i32_e64 s[74:75], 11, v16                         // 0000000058A8: D0C1004A 0002208B
	v_cndmask_b32_e64 v70, v31, v70, s[72:73]                  // 0000000058B0: D1000046 01228D1F
	v_cndmask_b32_e64 v71, v31, v71, s[74:75]                  // 0000000058B8: D1000047 012A8F1F
	v_cmp_lt_i32_e64 s[72:73], 16, v16                         // 0000000058C0: D0C10048 00022090
	v_cmp_lt_i32_e64 s[74:75], 17, v16                         // 0000000058C8: D0C1004A 00022091
	v_cndmask_b32_e64 v72, v31, v72, s[72:73]                  // 0000000058D0: D1000048 0122911F
	v_cndmask_b32_e64 v73, v31, v73, s[74:75]                  // 0000000058D8: D1000049 012A931F
	v_cmp_lt_i32_e64 s[72:73], 18, v16                         // 0000000058E0: D0C10048 00022092
	v_cmp_lt_i32_e64 s[74:75], 19, v16                         // 0000000058E8: D0C1004A 00022093
	v_cndmask_b32_e64 v74, v31, v74, s[72:73]                  // 0000000058F0: D100004A 0122951F
	v_cndmask_b32_e64 v75, v31, v75, s[74:75]                  // 0000000058F8: D100004B 012A971F
	v_cmp_lt_i32_e64 s[72:73], 24, v16                         // 000000005900: D0C10048 00022098
	v_cmp_lt_i32_e64 s[74:75], 25, v16                         // 000000005908: D0C1004A 00022099
	v_cndmask_b32_e64 v76, v31, v76, s[72:73]                  // 000000005910: D100004C 0122991F
	v_cndmask_b32_e64 v77, v31, v77, s[74:75]                  // 000000005918: D100004D 012A9B1F
	v_cmp_lt_i32_e64 s[72:73], 26, v16                         // 000000005920: D0C10048 0002209A
	v_cmp_lt_i32_e64 s[74:75], 27, v16                         // 000000005928: D0C1004A 0002209B
	v_cndmask_b32_e64 v78, v31, v78, s[72:73]                  // 000000005930: D100004E 01229D1F
	v_cndmask_b32_e64 v79, v31, v79, s[74:75]                  // 000000005938: D100004F 012A9F1F

0000000000005940 <label_0990>:
	s_nop 0                                                    // 000000005940: BF800000
	s_nop 0                                                    // 000000005944: BF800000
	s_nop 14                                                   // 000000005948: BF80000E
	s_mov_b32 m0, s68                                          // 00000000594C: BEFC0044
	ds_read_b64 v[192:193], v13 offset:17408                   // 000000005950: D8EC4400 C000000D
	ds_read_b64 v[194:195], v13 offset:18432                   // 000000005958: D8EC4800 C200000D
	ds_read_b64 v[196:197], v13 offset:19456                   // 000000005960: D8EC4C00 C400000D
	ds_read_b64 v[198:199], v13 offset:20480                   // 000000005968: D8EC5000 C600000D
	ds_read_b64 v[200:201], v13 offset:17536                   // 000000005970: D8EC4480 C800000D
	ds_read_b64 v[202:203], v13 offset:18560                   // 000000005978: D8EC4880 CA00000D
	ds_read_b64 v[204:205], v13 offset:19584                   // 000000005980: D8EC4C80 CC00000D
	ds_read_b64 v[206:207], v13 offset:20608                   // 000000005988: D8EC5080 CE00000D
	s_nop 15                                                   // 000000005990: BF80000F
	s_nop 15                                                   // 000000005994: BF80000F
	buffer_load_dword v4, s[12:15], s60 offen lds              // 000000005998: E0511000 3C030004
	s_add_u32 m0, 0x880, m0                                    // 0000000059A0: 807C7CFF 00000880
	ds_read_b64 v[208:209], v13 offset:17664                   // 0000000059A8: D8EC4500 D000000D
	ds_read_b64 v[210:211], v13 offset:18688                   // 0000000059B0: D8EC4900 D200000D
	ds_read_b64 v[212:213], v13 offset:19712                   // 0000000059B8: D8EC4D00 D400000D
	ds_read_b64 v[214:215], v13 offset:20736                   // 0000000059C0: D8EC5100 D600000D
	buffer_load_dword v5, s[12:15], s60 offen lds              // 0000000059C8: E0511000 3C030005
	s_add_u32 m0, 0x880, m0                                    // 0000000059D0: 807C7CFF 00000880
	ds_read_b64 v[216:217], v13 offset:17792                   // 0000000059D8: D8EC4580 D800000D
	ds_read_b64 v[218:219], v13 offset:18816                   // 0000000059E0: D8EC4980 DA00000D
	ds_read_b64 v[220:221], v13 offset:19840                   // 0000000059E8: D8EC4D80 DC00000D
	ds_read_b64 v[222:223], v13 offset:20864                   // 0000000059F0: D8EC5180 DE00000D
	buffer_load_dword v6, s[12:15], s60 offen lds              // 0000000059F8: E0511000 3C030006
	s_add_u32 m0, 0x880, m0                                    // 000000005A00: 807C7CFF 00000880
	buffer_load_dword v7, s[12:15], s60 offen lds              // 000000005A08: E0511000 3C030007
	s_add_u32 m0, 0x880, m0                                    // 000000005A10: 807C7CFF 00000880
	s_add_i32 s60, s43, s60                                    // 000000005A18: 813C3C2B
	s_add_u32 s40, 0x80, s39                                   // 000000005A1C: 802827FF 00000080
	s_cmp_lt_u32 s40, s38                                      // 000000005A24: BF0A2628
	s_cselect_b32 s43, s43, 0                                  // 000000005A28: 852B802B
	s_add_i32 s52, s52, s53                                    // 000000005A2C: 81343534
	s_addk_i32 s39, 0x20                                       // 000000005A30: B7270020
	s_cmp_lt_i32 s39, s38                                      // 000000005A34: BF042627
	s_waitcnt vmcnt(8) lgkmcnt(0)                              // 000000005A38: BF8C0078
	s_barrier                                                  // 000000005A3C: BF8A0000
	v_mfma_f32_32x32x8_bf16 v[96:111], v[192:193], v[80:81], v[96:111]// 000000005A40: D3E00060 0582A1C0
	v_max3_f32 v25, v64, v65, v28                              // 000000005A48: D1D30019 04728340
	v_max3_f32 v25, v66, v67, v25                              // 000000005A50: D1D30019 04668742
	v_max3_f32 v25, v68, v69, v25                              // 000000005A58: D1D30019 04668B44
	v_max3_f32 v25, v70, v71, v25                              // 000000005A60: D1D30019 04668F46
	v_max3_f32 v25, v72, v73, v25                              // 000000005A68: D1D30019 04669348
	v_max3_f32 v25, v74, v75, v25                              // 000000005A70: D1D30019 0466974A
	v_max3_f32 v25, v76, v77, v25                              // 000000005A78: D1D30019 04669B4C
	v_mfma_f32_32x32x8_bf16 v[96:111], v[194:195], v[82:83], v[96:111]// 000000005A80: D3E00060 0582A5C2
	v_max3_f32 v25, v78, v79, v25                              // 000000005A88: D1D30019 04669F4E
	ds_permute_b32 v24, v32, v25                               // 000000005A90: D87C0000 18001920
	v_mfma_f32_32x32x8_bf16 v[96:111], v[196:197], v[84:85], v[96:111]// 000000005A98: D3E00060 0582A9C4
	v_nop                                                      // 000000005AA0: 7E000000
	s_nop 0                                                    // 000000005AA4: BF800000
	v_mfma_f32_32x32x8_bf16 v[96:111], v[198:199], v[86:87], v[96:111]// 000000005AA8: D3E00060 0582ADC6
	v_nop                                                      // 000000005AB0: 7E000000
	v_mfma_f32_32x32x8_bf16 v[112:127], v[200:201], v[80:81], v[112:127]// 000000005AB4: D3E00070 05C2A1C8
	s_waitcnt lgkmcnt(0)                                       // 000000005ABC: BF8CC07F
	v_max_f32_e32 v25, v24, v25                                // 000000005AC0: 16323318
	v_sub_f32_e32 v20, v28, v25                                // 000000005AC4: 0428331C
	v_mov_b32_e32 v28, v25                                     // 000000005AC8: 7E380319
	v_mul_f32_e32 v27, s56, v25                                // 000000005ACC: 0A363238
	v_mul_f32_e32 v20, s56, v20                                // 000000005AD0: 0A282838
	v_mfma_f32_32x32x8_bf16 v[112:127], v[202:203], v[82:83], v[112:127]// 000000005AD4: D3E00070 05C2A5CA
	v_exp_f32_e32 v20, v20                                     // 000000005ADC: 7E284114
	v_fma_f32 v64, v64, s56, -v27                              // 000000005AE0: D1CB0040 846C7140
	v_fma_f32 v65, v65, s56, -v27                              // 000000005AE8: D1CB0041 846C7141
	v_fma_f32 v66, v66, s56, -v27                              // 000000005AF0: D1CB0042 846C7142
	v_mfma_f32_32x32x8_bf16 v[112:127], v[204:205], v[84:85], v[112:127]// 000000005AF8: D3E00070 05C2A9CC
	v_fma_f32 v67, v67, s56, -v27                              // 000000005B00: D1CB0043 846C7143
	v_fma_f32 v68, v68, s56, -v27                              // 000000005B08: D1CB0044 846C7144
	v_fma_f32 v69, v69, s56, -v27                              // 000000005B10: D1CB0045 846C7145
	v_fma_f32 v70, v70, s56, -v27                              // 000000005B18: D1CB0046 846C7146
	v_fma_f32 v71, v71, s56, -v27                              // 000000005B20: D1CB0047 846C7147
	v_fma_f32 v72, v72, s56, -v27                              // 000000005B28: D1CB0048 846C7148
	v_fma_f32 v73, v73, s56, -v27                              // 000000005B30: D1CB0049 846C7149
	v_mfma_f32_32x32x8_bf16 v[112:127], v[206:207], v[86:87], v[112:127]// 000000005B38: D3E00070 05C2ADCE
	v_fma_f32 v74, v74, s56, -v27                              // 000000005B40: D1CB004A 846C714A
	v_fma_f32 v75, v75, s56, -v27                              // 000000005B48: D1CB004B 846C714B
	v_fma_f32 v76, v76, s56, -v27                              // 000000005B50: D1CB004C 846C714C
	v_fma_f32 v77, v77, s56, -v27                              // 000000005B58: D1CB004D 846C714D
	v_fma_f32 v78, v78, s56, -v27                              // 000000005B60: D1CB004E 846C714E
	v_fma_f32 v79, v79, s56, -v27                              // 000000005B68: D1CB004F 846C714F
	v_exp_f32_e32 v64, v64                                     // 000000005B70: 7E804140
	v_mfma_f32_32x32x8_bf16 v[128:143], v[208:209], v[80:81], v[128:143]// 000000005B74: D3E00080 0602A1D0
	v_exp_f32_e32 v65, v65                                     // 000000005B7C: 7E824141
	v_exp_f32_e32 v66, v66                                     // 000000005B80: 7E844142
	v_mfma_f32_32x32x8_bf16 v[128:143], v[210:211], v[82:83], v[128:143]// 000000005B84: D3E00080 0602A5D2
	v_exp_f32_e32 v67, v67                                     // 000000005B8C: 7E864143
	v_exp_f32_e32 v68, v68                                     // 000000005B90: 7E884144
	v_mfma_f32_32x32x8_bf16 v[128:143], v[212:213], v[84:85], v[128:143]// 000000005B94: D3E00080 0602A9D4
	v_exp_f32_e32 v69, v69                                     // 000000005B9C: 7E8A4145
	v_exp_f32_e32 v70, v70                                     // 000000005BA0: 7E8C4146
	v_mfma_f32_32x32x8_bf16 v[128:143], v[214:215], v[86:87], v[128:143]// 000000005BA4: D3E00080 0602ADD6
	v_exp_f32_e32 v71, v71                                     // 000000005BAC: 7E8E4147
	v_exp_f32_e32 v72, v72                                     // 000000005BB0: 7E904148
	v_mfma_f32_32x32x8_bf16 v[144:159], v[216:217], v[80:81], v[144:159]// 000000005BB4: D3E00090 0642A1D8
	v_exp_f32_e32 v73, v73                                     // 000000005BBC: 7E924149
	v_exp_f32_e32 v74, v74                                     // 000000005BC0: 7E94414A
	v_mfma_f32_32x32x8_bf16 v[144:159], v[218:219], v[82:83], v[144:159]// 000000005BC4: D3E00090 0642A5DA
	v_exp_f32_e32 v75, v75                                     // 000000005BCC: 7E96414B
	v_exp_f32_e32 v76, v76                                     // 000000005BD0: 7E98414C
	v_mfma_f32_32x32x8_bf16 v[144:159], v[220:221], v[84:85], v[144:159]// 000000005BD4: D3E00090 0642A9DC
	v_exp_f32_e32 v77, v77                                     // 000000005BDC: 7E9A414D
	v_exp_f32_e32 v78, v78                                     // 000000005BE0: 7E9C414E
	v_mfma_f32_32x32x8_bf16 v[144:159], v[222:223], v[86:87], v[144:159]// 000000005BE4: D3E00090 0642ADDE
	v_nop                                                      // 000000005BEC: 7E000000
	s_cbranch_scc0 label_0A3E                                  // 000000005BF0: BF840001
	s_branch label_06F5                                        // 000000005BF4: BF82FCB7

0000000000005bf8 <label_0A3E>:
	s_add_u32 s40, s38, 31                                     // 000000005BF8: 80289F26
	s_lshr_b32 s40, s40, 5                                     // 000000005BFC: 8F288528
	s_and_b32 s40, 1, s40                                      // 000000005C00: 86282881
	s_cmp_lt_i32 s40, 1                                        // 000000005C04: BF048128
	s_cbranch_scc0 label_0AF7                                  // 000000005C08: BF8400B4
	s_waitcnt vmcnt(4)                                         // 000000005C0C: BF8C0F74
	s_barrier                                                  // 000000005C10: BF8A0000
	v_perm_b32 v232, v229, v228, s50                           // 000000005C14: D1ED00E8 00CBC9E5
	v_perm_b32 v234, v229, v228, s49                           // 000000005C1C: D1ED00EA 00C7C9E5
	v_perm_b32 v233, v231, v230, s50                           // 000000005C24: D1ED00E9 00CBCDE7
	v_perm_b32 v235, v231, v230, s49                           // 000000005C2C: D1ED00EB 00C7CDE7
	ds_write_b64 v14, v[232:233] offset:17408                  // 000000005C34: D89A4400 0000E80E
	ds_write_b64 v14, v[234:235] offset:21568                  // 000000005C3C: D89A5440 0000EA0E
	s_waitcnt lgkmcnt(0)                                       // 000000005C44: BF8CC07F
	s_barrier                                                  // 000000005C48: BF8A0000
	ds_read_b64 v[192:193], v13 offset:17408                   // 000000005C4C: D8EC4400 C000000D
	ds_read_b64 v[194:195], v13 offset:18432                   // 000000005C54: D8EC4800 C200000D
	ds_read_b64 v[196:197], v13 offset:19456                   // 000000005C5C: D8EC4C00 C400000D
	ds_read_b64 v[198:199], v13 offset:20480                   // 000000005C64: D8EC5000 C600000D
	ds_read_b64 v[200:201], v13 offset:17536                   // 000000005C6C: D8EC4480 C800000D
	ds_read_b64 v[202:203], v13 offset:18560                   // 000000005C74: D8EC4880 CA00000D
	ds_read_b64 v[204:205], v13 offset:19584                   // 000000005C7C: D8EC4C80 CC00000D
	ds_read_b64 v[206:207], v13 offset:20608                   // 000000005C84: D8EC5080 CE00000D
	ds_read_b64 v[208:209], v13 offset:17664                   // 000000005C8C: D8EC4500 D000000D
	ds_read_b64 v[210:211], v13 offset:18688                   // 000000005C94: D8EC4900 D200000D
	ds_read_b64 v[212:213], v13 offset:19712                   // 000000005C9C: D8EC4D00 D400000D
	ds_read_b64 v[214:215], v13 offset:20736                   // 000000005CA4: D8EC5100 D600000D
	ds_read_b64 v[216:217], v13 offset:17792                   // 000000005CAC: D8EC4580 D800000D
	ds_read_b64 v[218:219], v13 offset:18816                   // 000000005CB4: D8EC4980 DA00000D
	ds_read_b64 v[220:221], v13 offset:19840                   // 000000005CBC: D8EC4D80 DC00000D
	ds_read_b64 v[222:223], v13 offset:20864                   // 000000005CC4: D8EC5180 DE00000D
	v_exp_f32_e32 v95, v95                                     // 000000005CCC: 7EBE415F
	v_mul_f32_e32 v22, v20, v22                                // 000000005CD0: 0A2C2D14
	v_add_f32_e32 v38, v81, v80                                // 000000005CD4: 024CA151
	v_add_f32_e32 v38, v82, v38                                // 000000005CD8: 024C4D52
	v_add_f32_e32 v38, v83, v38                                // 000000005CDC: 024C4D53
	v_add_f32_e32 v38, v84, v38                                // 000000005CE0: 024C4D54
	v_add_f32_e32 v38, v85, v38                                // 000000005CE4: 024C4D55
	v_add_f32_e32 v38, v86, v38                                // 000000005CE8: 024C4D56
	v_add_f32_e32 v38, v87, v38                                // 000000005CEC: 024C4D57
	v_add_f32_e32 v38, v88, v38                                // 000000005CF0: 024C4D58
	v_add_f32_e32 v38, v89, v38                                // 000000005CF4: 024C4D59
	v_add_f32_e32 v38, v90, v38                                // 000000005CF8: 024C4D5A
	v_add_f32_e32 v38, v91, v38                                // 000000005CFC: 024C4D5B
	v_add_f32_e32 v38, v92, v38                                // 000000005D00: 024C4D5C
	v_add_f32_e32 v38, v93, v38                                // 000000005D04: 024C4D5D
	v_add_f32_e32 v38, v94, v38                                // 000000005D08: 024C4D5E
	v_add_f32_e32 v38, v95, v38                                // 000000005D0C: 024C4D5F
	v_add_f32_e32 v22, v38, v22                                // 000000005D10: 022C2D26
	v_mul_f32_e32 v96, v20, v96                                // 000000005D14: 0AC0C114
	v_mul_f32_e32 v97, v20, v97                                // 000000005D18: 0AC2C314
	v_mul_f32_e32 v98, v20, v98                                // 000000005D1C: 0AC4C514
	v_mul_f32_e32 v99, v20, v99                                // 000000005D20: 0AC6C714
	v_mul_f32_e32 v100, v20, v100                              // 000000005D24: 0AC8C914
	v_mul_f32_e32 v101, v20, v101                              // 000000005D28: 0ACACB14
	v_mul_f32_e32 v102, v20, v102                              // 000000005D2C: 0ACCCD14
	v_mul_f32_e32 v103, v20, v103                              // 000000005D30: 0ACECF14
	v_mul_f32_e32 v104, v20, v104                              // 000000005D34: 0AD0D114
	v_mul_f32_e32 v105, v20, v105                              // 000000005D38: 0AD2D314
	v_mul_f32_e32 v106, v20, v106                              // 000000005D3C: 0AD4D514
	v_mul_f32_e32 v107, v20, v107                              // 000000005D40: 0AD6D714
	v_mul_f32_e32 v108, v20, v108                              // 000000005D44: 0AD8D914
	v_mul_f32_e32 v109, v20, v109                              // 000000005D48: 0ADADB14
	v_mul_f32_e32 v110, v20, v110                              // 000000005D4C: 0ADCDD14
	v_mul_f32_e32 v111, v20, v111                              // 000000005D50: 0ADEDF14
	v_mul_f32_e32 v112, v20, v112                              // 000000005D54: 0AE0E114
	v_mul_f32_e32 v113, v20, v113                              // 000000005D58: 0AE2E314
	v_mul_f32_e32 v114, v20, v114                              // 000000005D5C: 0AE4E514
	v_mul_f32_e32 v115, v20, v115                              // 000000005D60: 0AE6E714
	v_mul_f32_e32 v116, v20, v116                              // 000000005D64: 0AE8E914
	v_mul_f32_e32 v117, v20, v117                              // 000000005D68: 0AEAEB14
	v_mul_f32_e32 v118, v20, v118                              // 000000005D6C: 0AECED14
	v_mul_f32_e32 v119, v20, v119                              // 000000005D70: 0AEEEF14
	v_mul_f32_e32 v120, v20, v120                              // 000000005D74: 0AF0F114
	v_mul_f32_e32 v121, v20, v121                              // 000000005D78: 0AF2F314
	v_mul_f32_e32 v122, v20, v122                              // 000000005D7C: 0AF4F514
	v_mul_f32_e32 v123, v20, v123                              // 000000005D80: 0AF6F714
	v_mul_f32_e32 v124, v20, v124                              // 000000005D84: 0AF8F914
	v_mul_f32_e32 v125, v20, v125                              // 000000005D88: 0AFAFB14
	v_mul_f32_e32 v126, v20, v126                              // 000000005D8C: 0AFCFD14
	v_mul_f32_e32 v127, v20, v127                              // 000000005D90: 0AFEFF14
	v_mul_f32_e32 v128, v20, v128                              // 000000005D94: 0B010114
	v_mul_f32_e32 v129, v20, v129                              // 000000005D98: 0B030314
	v_mul_f32_e32 v130, v20, v130                              // 000000005D9C: 0B050514
	v_mul_f32_e32 v131, v20, v131                              // 000000005DA0: 0B070714
	v_mul_f32_e32 v132, v20, v132                              // 000000005DA4: 0B090914
	v_mul_f32_e32 v133, v20, v133                              // 000000005DA8: 0B0B0B14
	v_mul_f32_e32 v134, v20, v134                              // 000000005DAC: 0B0D0D14
	v_mul_f32_e32 v135, v20, v135                              // 000000005DB0: 0B0F0F14
	v_mul_f32_e32 v136, v20, v136                              // 000000005DB4: 0B111114
	v_mul_f32_e32 v137, v20, v137                              // 000000005DB8: 0B131314
	v_mul_f32_e32 v138, v20, v138                              // 000000005DBC: 0B151514
	v_mul_f32_e32 v139, v20, v139                              // 000000005DC0: 0B171714
	v_mul_f32_e32 v140, v20, v140                              // 000000005DC4: 0B191914
	v_mul_f32_e32 v141, v20, v141                              // 000000005DC8: 0B1B1B14
	v_mul_f32_e32 v142, v20, v142                              // 000000005DCC: 0B1D1D14
	v_mul_f32_e32 v143, v20, v143                              // 000000005DD0: 0B1F1F14
	v_mul_f32_e32 v144, v20, v144                              // 000000005DD4: 0B212114
	v_mul_f32_e32 v145, v20, v145                              // 000000005DD8: 0B232314
	v_mul_f32_e32 v146, v20, v146                              // 000000005DDC: 0B252514
	v_mul_f32_e32 v147, v20, v147                              // 000000005DE0: 0B272714
	v_mul_f32_e32 v148, v20, v148                              // 000000005DE4: 0B292914
	v_mul_f32_e32 v149, v20, v149                              // 000000005DE8: 0B2B2B14
	v_mul_f32_e32 v150, v20, v150                              // 000000005DEC: 0B2D2D14
	v_mul_f32_e32 v151, v20, v151                              // 000000005DF0: 0B2F2F14
	v_mul_f32_e32 v152, v20, v152                              // 000000005DF4: 0B313114
	v_mul_f32_e32 v153, v20, v153                              // 000000005DF8: 0B333314
	v_mul_f32_e32 v154, v20, v154                              // 000000005DFC: 0B353514
	v_mul_f32_e32 v155, v20, v155                              // 000000005E00: 0B373714
	v_mul_f32_e32 v156, v20, v156                              // 000000005E04: 0B393914
	v_mul_f32_e32 v157, v20, v157                              // 000000005E08: 0B3B3B14
	v_mul_f32_e32 v158, v20, v158                              // 000000005E0C: 0B3D3D14
	v_mul_f32_e32 v159, v20, v159                              // 000000005E10: 0B3F3F14
	v_perm_b32 v80, v81, v80, s49                              // 000000005E14: D1ED0050 00C6A151
	v_perm_b32 v81, v83, v82, s49                              // 000000005E1C: D1ED0051 00C6A553
	v_perm_b32 v82, v85, v84, s49                              // 000000005E24: D1ED0052 00C6A955
	v_perm_b32 v83, v87, v86, s49                              // 000000005E2C: D1ED0053 00C6AD57
	v_perm_b32 v84, v89, v88, s49                              // 000000005E34: D1ED0054 00C6B159
	v_perm_b32 v85, v91, v90, s49                              // 000000005E3C: D1ED0055 00C6B55B
	v_perm_b32 v86, v93, v92, s49                              // 000000005E44: D1ED0056 00C6B95D
	v_perm_b32 v87, v95, v94, s49                              // 000000005E4C: D1ED0057 00C6BD5F
	s_waitcnt lgkmcnt(0)                                       // 000000005E54: BF8CC07F
	v_mfma_f32_32x32x8_bf16 v[96:111], v[192:193], v[80:81], v[96:111]// 000000005E58: D3E00060 0582A1C0
	v_mfma_f32_32x32x8_bf16 v[96:111], v[194:195], v[82:83], v[96:111]// 000000005E60: D3E00060 0582A5C2
	v_mfma_f32_32x32x8_bf16 v[96:111], v[196:197], v[84:85], v[96:111]// 000000005E68: D3E00060 0582A9C4
	v_mfma_f32_32x32x8_bf16 v[96:111], v[198:199], v[86:87], v[96:111]// 000000005E70: D3E00060 0582ADC6
	v_mfma_f32_32x32x8_bf16 v[112:127], v[200:201], v[80:81], v[112:127]// 000000005E78: D3E00070 05C2A1C8
	v_mfma_f32_32x32x8_bf16 v[112:127], v[202:203], v[82:83], v[112:127]// 000000005E80: D3E00070 05C2A5CA
	v_mfma_f32_32x32x8_bf16 v[112:127], v[204:205], v[84:85], v[112:127]// 000000005E88: D3E00070 05C2A9CC
	v_mfma_f32_32x32x8_bf16 v[112:127], v[206:207], v[86:87], v[112:127]// 000000005E90: D3E00070 05C2ADCE
	v_mfma_f32_32x32x8_bf16 v[128:143], v[208:209], v[80:81], v[128:143]// 000000005E98: D3E00080 0602A1D0
	v_mfma_f32_32x32x8_bf16 v[128:143], v[210:211], v[82:83], v[128:143]// 000000005EA0: D3E00080 0602A5D2
	v_mfma_f32_32x32x8_bf16 v[128:143], v[212:213], v[84:85], v[128:143]// 000000005EA8: D3E00080 0602A9D4
	v_mfma_f32_32x32x8_bf16 v[128:143], v[214:215], v[86:87], v[128:143]// 000000005EB0: D3E00080 0602ADD6
	v_mfma_f32_32x32x8_bf16 v[144:159], v[216:217], v[80:81], v[144:159]// 000000005EB8: D3E00090 0642A1D8
	v_mfma_f32_32x32x8_bf16 v[144:159], v[218:219], v[82:83], v[144:159]// 000000005EC0: D3E00090 0642A5DA
	v_mfma_f32_32x32x8_bf16 v[144:159], v[220:221], v[84:85], v[144:159]// 000000005EC8: D3E00090 0642A9DC
	v_mfma_f32_32x32x8_bf16 v[144:159], v[222:223], v[86:87], v[144:159]// 000000005ED0: D3E00090 0642ADDE
	s_branch label_0BAA                                        // 000000005ED8: BF8200B3

0000000000005edc <label_0AF7>:
	s_waitcnt vmcnt(4)                                         // 000000005EDC: BF8C0F74
	s_barrier                                                  // 000000005EE0: BF8A0000
	v_perm_b32 v232, v225, v224, s50                           // 000000005EE4: D1ED00E8 00CBC1E1
	v_perm_b32 v234, v225, v224, s49                           // 000000005EEC: D1ED00EA 00C7C1E1
	v_perm_b32 v233, v227, v226, s50                           // 000000005EF4: D1ED00E9 00CBC5E3
	v_perm_b32 v235, v227, v226, s49                           // 000000005EFC: D1ED00EB 00C7C5E3
	ds_write_b64 v14, v[232:233] offset:17408                  // 000000005F04: D89A4400 0000E80E
	ds_write_b64 v14, v[234:235] offset:21568                  // 000000005F0C: D89A5440 0000EA0E
	s_waitcnt lgkmcnt(0)                                       // 000000005F14: BF8CC07F
	s_barrier                                                  // 000000005F18: BF8A0000
	ds_read_b64 v[192:193], v13 offset:17408                   // 000000005F1C: D8EC4400 C000000D
	ds_read_b64 v[194:195], v13 offset:18432                   // 000000005F24: D8EC4800 C200000D
	ds_read_b64 v[196:197], v13 offset:19456                   // 000000005F2C: D8EC4C00 C400000D
	ds_read_b64 v[198:199], v13 offset:20480                   // 000000005F34: D8EC5000 C600000D
	ds_read_b64 v[200:201], v13 offset:17536                   // 000000005F3C: D8EC4480 C800000D
	ds_read_b64 v[202:203], v13 offset:18560                   // 000000005F44: D8EC4880 CA00000D
	ds_read_b64 v[204:205], v13 offset:19584                   // 000000005F4C: D8EC4C80 CC00000D
	ds_read_b64 v[206:207], v13 offset:20608                   // 000000005F54: D8EC5080 CE00000D
	ds_read_b64 v[208:209], v13 offset:17664                   // 000000005F5C: D8EC4500 D000000D
	ds_read_b64 v[210:211], v13 offset:18688                   // 000000005F64: D8EC4900 D200000D
	ds_read_b64 v[212:213], v13 offset:19712                   // 000000005F6C: D8EC4D00 D400000D
	ds_read_b64 v[214:215], v13 offset:20736                   // 000000005F74: D8EC5100 D600000D
	ds_read_b64 v[216:217], v13 offset:17792                   // 000000005F7C: D8EC4580 D800000D
	ds_read_b64 v[218:219], v13 offset:18816                   // 000000005F84: D8EC4980 DA00000D
	ds_read_b64 v[220:221], v13 offset:19840                   // 000000005F8C: D8EC4D80 DC00000D
	ds_read_b64 v[222:223], v13 offset:20864                   // 000000005F94: D8EC5180 DE00000D
	v_exp_f32_e32 v79, v79                                     // 000000005F9C: 7E9E414F
	v_mul_f32_e32 v22, v20, v22                                // 000000005FA0: 0A2C2D14
	v_add_f32_e32 v38, v65, v64                                // 000000005FA4: 024C8141
	v_add_f32_e32 v38, v66, v38                                // 000000005FA8: 024C4D42
	v_add_f32_e32 v38, v67, v38                                // 000000005FAC: 024C4D43
	v_add_f32_e32 v38, v68, v38                                // 000000005FB0: 024C4D44
	v_add_f32_e32 v38, v69, v38                                // 000000005FB4: 024C4D45
	v_add_f32_e32 v38, v70, v38                                // 000000005FB8: 024C4D46
	v_add_f32_e32 v38, v71, v38                                // 000000005FBC: 024C4D47
	v_add_f32_e32 v38, v72, v38                                // 000000005FC0: 024C4D48
	v_add_f32_e32 v38, v73, v38                                // 000000005FC4: 024C4D49
	v_add_f32_e32 v38, v74, v38                                // 000000005FC8: 024C4D4A
	v_add_f32_e32 v38, v75, v38                                // 000000005FCC: 024C4D4B
	v_add_f32_e32 v38, v76, v38                                // 000000005FD0: 024C4D4C
	v_add_f32_e32 v38, v77, v38                                // 000000005FD4: 024C4D4D
	v_add_f32_e32 v38, v78, v38                                // 000000005FD8: 024C4D4E
	v_add_f32_e32 v38, v79, v38                                // 000000005FDC: 024C4D4F
	v_add_f32_e32 v22, v38, v22                                // 000000005FE0: 022C2D26
	v_mul_f32_e32 v96, v20, v96                                // 000000005FE4: 0AC0C114
	v_mul_f32_e32 v97, v20, v97                                // 000000005FE8: 0AC2C314
	v_mul_f32_e32 v98, v20, v98                                // 000000005FEC: 0AC4C514
	v_mul_f32_e32 v99, v20, v99                                // 000000005FF0: 0AC6C714
	v_mul_f32_e32 v100, v20, v100                              // 000000005FF4: 0AC8C914
	v_mul_f32_e32 v101, v20, v101                              // 000000005FF8: 0ACACB14
	v_mul_f32_e32 v102, v20, v102                              // 000000005FFC: 0ACCCD14
	v_mul_f32_e32 v103, v20, v103                              // 000000006000: 0ACECF14
	v_mul_f32_e32 v104, v20, v104                              // 000000006004: 0AD0D114
	v_mul_f32_e32 v105, v20, v105                              // 000000006008: 0AD2D314
	v_mul_f32_e32 v106, v20, v106                              // 00000000600C: 0AD4D514
	v_mul_f32_e32 v107, v20, v107                              // 000000006010: 0AD6D714
	v_mul_f32_e32 v108, v20, v108                              // 000000006014: 0AD8D914
	v_mul_f32_e32 v109, v20, v109                              // 000000006018: 0ADADB14
	v_mul_f32_e32 v110, v20, v110                              // 00000000601C: 0ADCDD14
	v_mul_f32_e32 v111, v20, v111                              // 000000006020: 0ADEDF14
	v_mul_f32_e32 v112, v20, v112                              // 000000006024: 0AE0E114
	v_mul_f32_e32 v113, v20, v113                              // 000000006028: 0AE2E314
	v_mul_f32_e32 v114, v20, v114                              // 00000000602C: 0AE4E514
	v_mul_f32_e32 v115, v20, v115                              // 000000006030: 0AE6E714
	v_mul_f32_e32 v116, v20, v116                              // 000000006034: 0AE8E914
	v_mul_f32_e32 v117, v20, v117                              // 000000006038: 0AEAEB14
	v_mul_f32_e32 v118, v20, v118                              // 00000000603C: 0AECED14
	v_mul_f32_e32 v119, v20, v119                              // 000000006040: 0AEEEF14
	v_mul_f32_e32 v120, v20, v120                              // 000000006044: 0AF0F114
	v_mul_f32_e32 v121, v20, v121                              // 000000006048: 0AF2F314
	v_mul_f32_e32 v122, v20, v122                              // 00000000604C: 0AF4F514
	v_mul_f32_e32 v123, v20, v123                              // 000000006050: 0AF6F714
	v_mul_f32_e32 v124, v20, v124                              // 000000006054: 0AF8F914
	v_mul_f32_e32 v125, v20, v125                              // 000000006058: 0AFAFB14
	v_mul_f32_e32 v126, v20, v126                              // 00000000605C: 0AFCFD14
	v_mul_f32_e32 v127, v20, v127                              // 000000006060: 0AFEFF14
	v_mul_f32_e32 v128, v20, v128                              // 000000006064: 0B010114
	v_mul_f32_e32 v129, v20, v129                              // 000000006068: 0B030314
	v_mul_f32_e32 v130, v20, v130                              // 00000000606C: 0B050514
	v_mul_f32_e32 v131, v20, v131                              // 000000006070: 0B070714
	v_mul_f32_e32 v132, v20, v132                              // 000000006074: 0B090914
	v_mul_f32_e32 v133, v20, v133                              // 000000006078: 0B0B0B14
	v_mul_f32_e32 v134, v20, v134                              // 00000000607C: 0B0D0D14
	v_mul_f32_e32 v135, v20, v135                              // 000000006080: 0B0F0F14
	v_mul_f32_e32 v136, v20, v136                              // 000000006084: 0B111114
	v_mul_f32_e32 v137, v20, v137                              // 000000006088: 0B131314
	v_mul_f32_e32 v138, v20, v138                              // 00000000608C: 0B151514
	v_mul_f32_e32 v139, v20, v139                              // 000000006090: 0B171714
	v_mul_f32_e32 v140, v20, v140                              // 000000006094: 0B191914
	v_mul_f32_e32 v141, v20, v141                              // 000000006098: 0B1B1B14
	v_mul_f32_e32 v142, v20, v142                              // 00000000609C: 0B1D1D14
	v_mul_f32_e32 v143, v20, v143                              // 0000000060A0: 0B1F1F14
	v_mul_f32_e32 v144, v20, v144                              // 0000000060A4: 0B212114
	v_mul_f32_e32 v145, v20, v145                              // 0000000060A8: 0B232314
	v_mul_f32_e32 v146, v20, v146                              // 0000000060AC: 0B252514
	v_mul_f32_e32 v147, v20, v147                              // 0000000060B0: 0B272714
	v_mul_f32_e32 v148, v20, v148                              // 0000000060B4: 0B292914
	v_mul_f32_e32 v149, v20, v149                              // 0000000060B8: 0B2B2B14
	v_mul_f32_e32 v150, v20, v150                              // 0000000060BC: 0B2D2D14
	v_mul_f32_e32 v151, v20, v151                              // 0000000060C0: 0B2F2F14
	v_mul_f32_e32 v152, v20, v152                              // 0000000060C4: 0B313114
	v_mul_f32_e32 v153, v20, v153                              // 0000000060C8: 0B333314
	v_mul_f32_e32 v154, v20, v154                              // 0000000060CC: 0B353514
	v_mul_f32_e32 v155, v20, v155                              // 0000000060D0: 0B373714
	v_mul_f32_e32 v156, v20, v156                              // 0000000060D4: 0B393914
	v_mul_f32_e32 v157, v20, v157                              // 0000000060D8: 0B3B3B14
	v_mul_f32_e32 v158, v20, v158                              // 0000000060DC: 0B3D3D14
	v_mul_f32_e32 v159, v20, v159                              // 0000000060E0: 0B3F3F14
	v_perm_b32 v64, v65, v64, s49                              // 0000000060E4: D1ED0040 00C68141
	v_perm_b32 v65, v67, v66, s49                              // 0000000060EC: D1ED0041 00C68543
	v_perm_b32 v66, v69, v68, s49                              // 0000000060F4: D1ED0042 00C68945
	v_perm_b32 v67, v71, v70, s49                              // 0000000060FC: D1ED0043 00C68D47
	v_perm_b32 v68, v73, v72, s49                              // 000000006104: D1ED0044 00C69149
	v_perm_b32 v69, v75, v74, s49                              // 00000000610C: D1ED0045 00C6954B
	v_perm_b32 v70, v77, v76, s49                              // 000000006114: D1ED0046 00C6994D
	v_perm_b32 v71, v79, v78, s49                              // 00000000611C: D1ED0047 00C69D4F
	s_waitcnt lgkmcnt(0)                                       // 000000006124: BF8CC07F
	v_mfma_f32_32x32x8_bf16 v[96:111], v[192:193], v[64:65], v[96:111]// 000000006128: D3E00060 058281C0
	v_mfma_f32_32x32x8_bf16 v[96:111], v[194:195], v[66:67], v[96:111]// 000000006130: D3E00060 058285C2
	v_mfma_f32_32x32x8_bf16 v[96:111], v[196:197], v[68:69], v[96:111]// 000000006138: D3E00060 058289C4
	v_mfma_f32_32x32x8_bf16 v[96:111], v[198:199], v[70:71], v[96:111]// 000000006140: D3E00060 05828DC6
	v_mfma_f32_32x32x8_bf16 v[112:127], v[200:201], v[64:65], v[112:127]// 000000006148: D3E00070 05C281C8
	v_mfma_f32_32x32x8_bf16 v[112:127], v[202:203], v[66:67], v[112:127]// 000000006150: D3E00070 05C285CA
	v_mfma_f32_32x32x8_bf16 v[112:127], v[204:205], v[68:69], v[112:127]// 000000006158: D3E00070 05C289CC
	v_mfma_f32_32x32x8_bf16 v[112:127], v[206:207], v[70:71], v[112:127]// 000000006160: D3E00070 05C28DCE
	v_mfma_f32_32x32x8_bf16 v[128:143], v[208:209], v[64:65], v[128:143]// 000000006168: D3E00080 060281D0
	v_mfma_f32_32x32x8_bf16 v[128:143], v[210:211], v[66:67], v[128:143]// 000000006170: D3E00080 060285D2
	v_mfma_f32_32x32x8_bf16 v[128:143], v[212:213], v[68:69], v[128:143]// 000000006178: D3E00080 060289D4
	v_mfma_f32_32x32x8_bf16 v[128:143], v[214:215], v[70:71], v[128:143]// 000000006180: D3E00080 06028DD6
	v_mfma_f32_32x32x8_bf16 v[144:159], v[216:217], v[64:65], v[144:159]// 000000006188: D3E00090 064281D8
	v_mfma_f32_32x32x8_bf16 v[144:159], v[218:219], v[66:67], v[144:159]// 000000006190: D3E00090 064285DA
	v_mfma_f32_32x32x8_bf16 v[144:159], v[220:221], v[68:69], v[144:159]// 000000006198: D3E00090 064289DC
	v_mfma_f32_32x32x8_bf16 v[144:159], v[222:223], v[70:71], v[144:159]// 0000000061A0: D3E00090 06428DDE

00000000000061a8 <label_0BAA>:
	v_cvt_f32_u32_e32 v16, s62                                 // 0000000061A8: 7E200C3E
	s_sub_i32 s40, 0, s62                                      // 0000000061AC: 81A83E80
	v_rcp_iflag_f32_e32 v16, v16                               // 0000000061B0: 7E204710
	s_nop 0                                                    // 0000000061B4: BF800000
	v_mul_f32_e32 v16, 0x4f7ffffe, v16                         // 0000000061B8: 0A2020FF 4F7FFFFE
	v_cvt_u32_f32_e32 v16, v16                                 // 0000000061C0: 7E200F10
	v_mul_lo_u32 v17, s40, v16                                 // 0000000061C4: D2850011 00022028
	v_mul_hi_u32 v17, v16, v17                                 // 0000000061CC: D2860011 00022310
	v_add_u32_e32 v16, v16, v17                                // 0000000061D4: 68202310
	v_mul_hi_u32 v16, s63, v16                                 // 0000000061D8: D2860010 0002203F
	v_mul_lo_u32 v17, v16, s62                                 // 0000000061E0: D2850011 00007D10
	v_sub_u32_e32 v19, s63, v17                                // 0000000061E8: 6A26223F
	v_add_u32_e32 v18, 1, v16                                  // 0000000061EC: 68242081
	v_cmp_le_u32_e32 vcc, s62, v19                             // 0000000061F0: 7D96263E
	v_subrev_u32_e32 v17, s62, v19                             // 0000000061F4: 6C22263E
	s_nop 0                                                    // 0000000061F8: BF800000
	v_cndmask_b32_e32 v16, v16, v18, vcc                       // 0000000061FC: 00202510
	v_cndmask_b32_e32 v19, v19, v17, vcc                       // 000000006200: 00262313
	v_add_u32_e32 v17, 1, v16                                  // 000000006204: 68222081
	v_cmp_le_u32_e32 vcc, s62, v19                             // 000000006208: 7D96263E
	s_nop 1                                                    // 00000000620C: BF800001
	v_cndmask_b32_e32 v19, v16, v17, vcc                       // 000000006210: 00262310
	s_nop 3                                                    // 000000006214: BF800003
	v_readfirstlane_b32 s63, v19                               // 000000006218: 7E7E0513
	s_nop 3                                                    // 00000000621C: BF800003
	s_mul_i32 s63, s63, s83                                    // 000000006220: 923F533F
	v_lshrrev_b32_e32 v16, 3, v0                               // 000000006224: 20200083
	v_mul_i32_i24_e32 v8, s83, v16                             // 000000006228: 0C102053
	v_and_b32_e32 v16, 7, v0                                   // 00000000622C: 26200087
	v_mul_i32_i24_e32 v16, 16, v16                             // 000000006230: 0C202090
	v_add_u32_e32 v8, v16, v8                                  // 000000006234: 68101110
	s_mul_i32 s40, s5, s83                                     // 000000006238: 92285305
	s_mul_i32 s40, s40, 32                                     // 00000000623C: 9228A028
	s_add_u32 s40, s63, s40                                    // 000000006240: 8028283F
	v_add_u32_e32 v8, s40, v8                                  // 000000006244: 68101028
	s_mul_i32 s40, s83, 8                                      // 000000006248: 92288853
	v_add_u32_e32 v9, s40, v8                                  // 00000000624C: 68121028
	v_add_u32_e32 v10, s40, v9                                 // 000000006250: 68141228
	v_add_u32_e32 v11, s40, v10                                // 000000006254: 68161428
	s_mul_i32 s40, s4, 0x100                                   // 000000006258: 9228FF04 00000100
	v_and_b32_e32 v3, 31, v0                                   // 000000006260: 2606009F
	v_add_u32_e32 v3, s40, v3                                  // 000000006264: 68060628
	s_mul_i32 s40, s5, 32                                      // 000000006268: 9228A005
	v_add_u32_e32 v3, s40, v3                                  // 00000000626C: 68060628
	v_lshlrev_b32_e32 v3, 2, v3                                // 000000006270: 24060682
	ds_permute_b32 v16, v32, v22                               // 000000006274: D87C0000 10001620
	s_waitcnt lgkmcnt(0)                                       // 00000000627C: BF8CC07F
	v_add_f32_e32 v22, v16, v22                                // 000000006280: 022C2D10
	v_mul_f32_e64 v16, v28, s28                                // 000000006284: D1050010 0000391C
	v_log_f32_e32 v17, v22                                     // 00000000628C: 7E224316
	v_cmp_eq_f32_e64 s[40:41], v22, 0                          // 000000006290: D0420028 00010116
	s_nop 1                                                    // 000000006298: BF800001
	v_rcp_f32_e32 v22, v22                                     // 00000000629C: 7E2C4516
	s_nop 1                                                    // 0000000062A0: BF800001
	v_cndmask_b32_e64 v22, v22, 0, s[40:41]                    // 0000000062A4: D1000016 00A10116
	v_fma_f32 v2, v17, s45, v16                                // 0000000062AC: D1CB0002 04405B11
	v_mov_b32_e32 v23, v22                                     // 0000000062B4: 7E2E0316
	v_lshrrev_b32_e32 v16, 5, v0                               // 0000000062B8: 20200085
	v_mul_i32_i24_e32 v35, 0x42, v16                           // 0000000062BC: 0C4620FF 00000042
	v_and_b32_e32 v16, 31, v0                                  // 0000000062C4: 2620009F
	v_mul_i32_i24_e32 v16, 2, v16                              // 0000000062C8: 0C202082
	v_add_u32_e32 v35, v16, v35                                // 0000000062CC: 68464710
	s_mul_i32 s40, s5, 0x420                                   // 0000000062D0: 9228FF05 00000420
	v_add_u32_e32 v35, s40, v35                                // 0000000062D8: 68464628
	v_lshlrev_b32_e32 v35, 2, v35                              // 0000000062DC: 24464682
	v_lshrrev_b32_e32 v16, 3, v0                               // 0000000062E0: 20200083
	v_mul_i32_i24_e32 v34, 2, v16                              // 0000000062E4: 0C442082
	v_and_b32_e32 v16, 7, v0                                   // 0000000062E8: 26200087
	v_mul_i32_i24_e32 v16, 0x84, v16                           // 0000000062EC: 0C2020FF 00000084
	v_add_u32_e32 v34, v16, v34                                // 0000000062F4: 68444510
	s_mul_i32 s40, s5, 0x420                                   // 0000000062F8: 9228FF05 00000420
	v_add_u32_e32 v34, s40, v34                                // 000000006300: 68444428
	v_lshlrev_b32_e32 v34, 2, v34                              // 000000006304: 24444482
	s_waitcnt vmcnt(0) expcnt(0) lgkmcnt(0)                    // 000000006308: BF8C0000
	s_barrier                                                  // 00000000630C: BF8A0000
	v_pk_mul_f32 v[96:97], v[22:23], v[96:97]                  // 000000006310: D3B14060 1802C116
	v_pk_mul_f32 v[98:99], v[22:23], v[98:99]                  // 000000006318: D3B14062 1802C516
	v_pk_mul_f32 v[100:101], v[22:23], v[100:101]              // 000000006320: D3B14064 1802C916
	v_pk_mul_f32 v[102:103], v[22:23], v[102:103]              // 000000006328: D3B14066 1802CD16
	v_pk_mul_f32 v[104:105], v[22:23], v[104:105]              // 000000006330: D3B14068 1802D116
	v_pk_mul_f32 v[106:107], v[22:23], v[106:107]              // 000000006338: D3B1406A 1802D516
	v_pk_mul_f32 v[108:109], v[22:23], v[108:109]              // 000000006340: D3B1406C 1802D916
	v_pk_mul_f32 v[110:111], v[22:23], v[110:111]              // 000000006348: D3B1406E 1802DD16
	v_pk_mul_f32 v[112:113], v[22:23], v[112:113]              // 000000006350: D3B14070 1802E116
	v_pk_mul_f32 v[114:115], v[22:23], v[114:115]              // 000000006358: D3B14072 1802E516
	v_pk_mul_f32 v[116:117], v[22:23], v[116:117]              // 000000006360: D3B14074 1802E916
	v_pk_mul_f32 v[118:119], v[22:23], v[118:119]              // 000000006368: D3B14076 1802ED16
	v_pk_mul_f32 v[120:121], v[22:23], v[120:121]              // 000000006370: D3B14078 1802F116
	v_pk_mul_f32 v[122:123], v[22:23], v[122:123]              // 000000006378: D3B1407A 1802F516
	v_pk_mul_f32 v[124:125], v[22:23], v[124:125]              // 000000006380: D3B1407C 1802F916
	v_pk_mul_f32 v[126:127], v[22:23], v[126:127]              // 000000006388: D3B1407E 1802FD16
	v_perm_b32 v96, v97, v96, s49                              // 000000006390: D1ED0060 00C6C161
	v_perm_b32 v97, v99, v98, s49                              // 000000006398: D1ED0061 00C6C563
	v_perm_b32 v98, v101, v100, s49                            // 0000000063A0: D1ED0062 00C6C965
	v_perm_b32 v99, v103, v102, s49                            // 0000000063A8: D1ED0063 00C6CD67
	v_perm_b32 v100, v105, v104, s49                           // 0000000063B0: D1ED0064 00C6D169
	v_perm_b32 v101, v107, v106, s49                           // 0000000063B8: D1ED0065 00C6D56B
	v_perm_b32 v102, v109, v108, s49                           // 0000000063C0: D1ED0066 00C6D96D
	v_perm_b32 v103, v111, v110, s49                           // 0000000063C8: D1ED0067 00C6DD6F
	v_perm_b32 v104, v113, v112, s49                           // 0000000063D0: D1ED0068 00C6E171
	v_perm_b32 v105, v115, v114, s49                           // 0000000063D8: D1ED0069 00C6E573
	v_perm_b32 v106, v117, v116, s49                           // 0000000063E0: D1ED006A 00C6E975
	v_perm_b32 v107, v119, v118, s49                           // 0000000063E8: D1ED006B 00C6ED77
	v_perm_b32 v108, v121, v120, s49                           // 0000000063F0: D1ED006C 00C6F179
	v_perm_b32 v109, v123, v122, s49                           // 0000000063F8: D1ED006D 00C6F57B
	v_perm_b32 v110, v125, v124, s49                           // 000000006400: D1ED006E 00C6F97D
	v_perm_b32 v111, v127, v126, s49                           // 000000006408: D1ED006F 00C6FD7F
	ds_write_b64 v35, v[96:97]                                 // 000000006410: D89A0000 00006023
	ds_write_b64 v35, v[98:99] offset:528                      // 000000006418: D89A0210 00006223
	ds_write_b64 v35, v[100:101] offset:1056                   // 000000006420: D89A0420 00006423
	ds_write_b64 v35, v[102:103] offset:1584                   // 000000006428: D89A0630 00006623
	ds_write_b64 v35, v[104:105] offset:2112                   // 000000006430: D89A0840 00006823
	ds_write_b64 v35, v[106:107] offset:2640                   // 000000006438: D89A0A50 00006A23
	ds_write_b64 v35, v[108:109] offset:3168                   // 000000006440: D89A0C60 00006C23
	ds_write_b64 v35, v[110:111] offset:3696                   // 000000006448: D89A0E70 00006E23
	s_waitcnt vmcnt(0) expcnt(0) lgkmcnt(0)                    // 000000006450: BF8C0000
	ds_read_b64 v[96:97], v34                                  // 000000006454: D8EC0000 60000022
	ds_read_b64 v[98:99], v34 offset:264                       // 00000000645C: D8EC0108 62000022
	ds_read_b64 v[100:101], v34 offset:64                      // 000000006464: D8EC0040 64000022
	ds_read_b64 v[102:103], v34 offset:328                     // 00000000646C: D8EC0148 66000022
	ds_read_b64 v[104:105], v34 offset:128                     // 000000006474: D8EC0080 68000022
	ds_read_b64 v[106:107], v34 offset:392                     // 00000000647C: D8EC0188 6A000022
	ds_read_b64 v[108:109], v34 offset:192                     // 000000006484: D8EC00C0 6C000022
	ds_read_b64 v[110:111], v34 offset:456                     // 00000000648C: D8EC01C8 6E000022
	s_waitcnt vmcnt(0) expcnt(0) lgkmcnt(0)                    // 000000006494: BF8C0000
	buffer_store_dwordx4 v[96:99], v8, s[20:23], 0 offen       // 000000006498: E07C1000 80056008
	buffer_store_dwordx4 v[100:103], v9, s[20:23], 0 offen     // 0000000064A0: E07C1000 80056409
	buffer_store_dwordx4 v[104:107], v10, s[20:23], 0 offen    // 0000000064A8: E07C1000 8005680A
	buffer_store_dwordx4 v[108:111], v11, s[20:23], 0 offen    // 0000000064B0: E07C1000 80056C0B
	v_pk_mul_f32 v[128:129], v[22:23], v[128:129]              // 0000000064B8: D3B14080 18030116
	v_pk_mul_f32 v[130:131], v[22:23], v[130:131]              // 0000000064C0: D3B14082 18030516
	v_pk_mul_f32 v[132:133], v[22:23], v[132:133]              // 0000000064C8: D3B14084 18030916
	v_pk_mul_f32 v[134:135], v[22:23], v[134:135]              // 0000000064D0: D3B14086 18030D16
	v_pk_mul_f32 v[136:137], v[22:23], v[136:137]              // 0000000064D8: D3B14088 18031116
	v_pk_mul_f32 v[138:139], v[22:23], v[138:139]              // 0000000064E0: D3B1408A 18031516
	v_pk_mul_f32 v[140:141], v[22:23], v[140:141]              // 0000000064E8: D3B1408C 18031916
	v_pk_mul_f32 v[142:143], v[22:23], v[142:143]              // 0000000064F0: D3B1408E 18031D16
	v_pk_mul_f32 v[144:145], v[22:23], v[144:145]              // 0000000064F8: D3B14090 18032116
	v_pk_mul_f32 v[146:147], v[22:23], v[146:147]              // 000000006500: D3B14092 18032516
	v_pk_mul_f32 v[148:149], v[22:23], v[148:149]              // 000000006508: D3B14094 18032916
	v_pk_mul_f32 v[150:151], v[22:23], v[150:151]              // 000000006510: D3B14096 18032D16
	v_pk_mul_f32 v[152:153], v[22:23], v[152:153]              // 000000006518: D3B14098 18033116
	v_pk_mul_f32 v[154:155], v[22:23], v[154:155]              // 000000006520: D3B1409A 18033516
	v_pk_mul_f32 v[156:157], v[22:23], v[156:157]              // 000000006528: D3B1409C 18033916
	v_pk_mul_f32 v[158:159], v[22:23], v[158:159]              // 000000006530: D3B1409E 18033D16
	v_perm_b32 v128, v129, v128, s49                           // 000000006538: D1ED0080 00C70181
	v_perm_b32 v129, v131, v130, s49                           // 000000006540: D1ED0081 00C70583
	v_perm_b32 v130, v133, v132, s49                           // 000000006548: D1ED0082 00C70985
	v_perm_b32 v131, v135, v134, s49                           // 000000006550: D1ED0083 00C70D87
	v_perm_b32 v132, v137, v136, s49                           // 000000006558: D1ED0084 00C71189
	v_perm_b32 v133, v139, v138, s49                           // 000000006560: D1ED0085 00C7158B
	v_perm_b32 v134, v141, v140, s49                           // 000000006568: D1ED0086 00C7198D
	v_perm_b32 v135, v143, v142, s49                           // 000000006570: D1ED0087 00C71D8F
	v_perm_b32 v136, v145, v144, s49                           // 000000006578: D1ED0088 00C72191
	v_perm_b32 v137, v147, v146, s49                           // 000000006580: D1ED0089 00C72593
	v_perm_b32 v138, v149, v148, s49                           // 000000006588: D1ED008A 00C72995
	v_perm_b32 v139, v151, v150, s49                           // 000000006590: D1ED008B 00C72D97
	v_perm_b32 v140, v153, v152, s49                           // 000000006598: D1ED008C 00C73199
	v_perm_b32 v141, v155, v154, s49                           // 0000000065A0: D1ED008D 00C7359B
	v_perm_b32 v142, v157, v156, s49                           // 0000000065A8: D1ED008E 00C7399D
	v_perm_b32 v143, v159, v158, s49                           // 0000000065B0: D1ED008F 00C73D9F
	ds_write_b64 v35, v[128:129]                               // 0000000065B8: D89A0000 00008023
	ds_write_b64 v35, v[130:131] offset:528                    // 0000000065C0: D89A0210 00008223
	ds_write_b64 v35, v[132:133] offset:1056                   // 0000000065C8: D89A0420 00008423
	ds_write_b64 v35, v[134:135] offset:1584                   // 0000000065D0: D89A0630 00008623
	ds_write_b64 v35, v[136:137] offset:2112                   // 0000000065D8: D89A0840 00008823
	ds_write_b64 v35, v[138:139] offset:2640                   // 0000000065E0: D89A0A50 00008A23
	ds_write_b64 v35, v[140:141] offset:3168                   // 0000000065E8: D89A0C60 00008C23
	ds_write_b64 v35, v[142:143] offset:3696                   // 0000000065F0: D89A0E70 00008E23
	s_waitcnt vmcnt(0) expcnt(0) lgkmcnt(0)                    // 0000000065F8: BF8C0000
	ds_read_b64 v[128:129], v34                                // 0000000065FC: D8EC0000 80000022
	ds_read_b64 v[130:131], v34 offset:264                     // 000000006604: D8EC0108 82000022
	ds_read_b64 v[132:133], v34 offset:64                      // 00000000660C: D8EC0040 84000022
	ds_read_b64 v[134:135], v34 offset:328                     // 000000006614: D8EC0148 86000022
	ds_read_b64 v[136:137], v34 offset:128                     // 00000000661C: D8EC0080 88000022
	ds_read_b64 v[138:139], v34 offset:392                     // 000000006624: D8EC0188 8A000022
	ds_read_b64 v[140:141], v34 offset:192                     // 00000000662C: D8EC00C0 8C000022
	ds_read_b64 v[142:143], v34 offset:456                     // 000000006634: D8EC01C8 8E000022
	s_waitcnt vmcnt(0) expcnt(0) lgkmcnt(0)                    // 00000000663C: BF8C0000
	buffer_store_dwordx4 v[128:131], v8, s[20:23], 0 offen offset:128// 000000006640: E07C1080 80058008
	buffer_store_dwordx4 v[132:135], v9, s[20:23], 0 offen offset:128// 000000006648: E07C1080 80058409
	buffer_store_dwordx4 v[136:139], v10, s[20:23], 0 offen offset:128// 000000006650: E07C1080 8005880A
	buffer_store_dwordx4 v[140:143], v11, s[20:23], 0 offen offset:128// 000000006658: E07C1080 80058C0B
	s_cmp_eq_u32 s37, 0                                        // 000000006660: BF068025
	s_cbranch_scc1 label_0CE0                                  // 000000006664: BF850006
	v_cmp_ge_f32_e64 s[40:41], v2, v31                         // 000000006668: D0460028 00023F02
	v_cndmask_b32_e64 v2, v31, v2, s[40:41]                    // 000000006670: D1000002 00A2051F
	buffer_store_dword v2, v3, s[24:27], 0 offen               // 000000006678: E0701000 80060203

0000000000006680 <label_0CE0>:
	s_waitcnt vmcnt(0) expcnt(0) lgkmcnt(0)                    // 000000006680: BF8C0000
	s_endpgm                                                   // 000000006684: BF810000
